;; amdgpu-corpus repo=ROCm/hipCUB kind=compiled arch=gfx1201 opt=O3
	.amdgcn_target "amdgcn-amd-amdhsa--gfx1201"
	.amdhsa_code_object_version 6
	.section	.text._Z6kernelI13subtract_leftLj256ELj1ELb0EJPiS1_jEEvDpT3_,"axG",@progbits,_Z6kernelI13subtract_leftLj256ELj1ELb0EJPiS1_jEEvDpT3_,comdat
	.protected	_Z6kernelI13subtract_leftLj256ELj1ELb0EJPiS1_jEEvDpT3_ ; -- Begin function _Z6kernelI13subtract_leftLj256ELj1ELb0EJPiS1_jEEvDpT3_
	.globl	_Z6kernelI13subtract_leftLj256ELj1ELb0EJPiS1_jEEvDpT3_
	.p2align	8
	.type	_Z6kernelI13subtract_leftLj256ELj1ELb0EJPiS1_jEEvDpT3_,@function
_Z6kernelI13subtract_leftLj256ELj1ELb0EJPiS1_jEEvDpT3_: ; @_Z6kernelI13subtract_leftLj256ELj1ELb0EJPiS1_jEEvDpT3_
; %bb.0:
	s_load_b128 s[4:7], s[0:1], 0x0
	s_lshl_b32 s2, ttmp9, 8
	s_mov_b32 s3, 0
	v_lshlrev_b32_e32 v1, 2, v0
	s_lshl_b64 s[2:3], s[2:3], 2
	s_load_b32 s0, s[0:1], 0x10
	s_wait_kmcnt 0x0
	s_add_nc_u64 s[4:5], s[4:5], s[2:3]
	global_load_b32 v2, v1, s[4:5]
	s_cmp_eq_u32 s0, 0
	s_cbranch_scc1 .LBB0_5
; %bb.1:
	v_cmp_ne_u32_e32 vcc_lo, 0, v0
	v_add_nc_u32_e32 v0, -4, v1
	s_branch .LBB0_3
.LBB0_2:                                ;   in Loop: Header=BB0_3 Depth=1
	s_or_b32 exec_lo, exec_lo, s1
	s_delay_alu instid0(VALU_DEP_1)
	v_add_nc_u32_e32 v2, v3, v2
	s_add_co_i32 s0, s0, -1
	s_wait_loadcnt 0x0
	s_cmp_lg_u32 s0, 0
	s_barrier_signal -1
	s_barrier_wait -1
	global_inv scope:SCOPE_SE
	s_cbranch_scc0 .LBB0_5
.LBB0_3:                                ; =>This Inner Loop Header: Depth=1
	s_wait_loadcnt 0x0
	v_mov_b32_e32 v3, v2
	ds_store_b32 v1, v2
	s_wait_dscnt 0x0
	s_barrier_signal -1
	s_barrier_wait -1
	global_inv scope:SCOPE_SE
	s_and_saveexec_b32 s1, vcc_lo
	s_cbranch_execz .LBB0_2
; %bb.4:                                ;   in Loop: Header=BB0_3 Depth=1
	ds_load_b32 v3, v0
	s_wait_dscnt 0x0
	v_sub_nc_u32_e32 v3, v2, v3
	s_branch .LBB0_2
.LBB0_5:
	s_add_nc_u64 s[0:1], s[6:7], s[2:3]
	s_wait_loadcnt 0x0
	global_store_b32 v1, v2, s[0:1]
	s_endpgm
	.section	.rodata,"a",@progbits
	.p2align	6, 0x0
	.amdhsa_kernel _Z6kernelI13subtract_leftLj256ELj1ELb0EJPiS1_jEEvDpT3_
		.amdhsa_group_segment_fixed_size 2048
		.amdhsa_private_segment_fixed_size 0
		.amdhsa_kernarg_size 20
		.amdhsa_user_sgpr_count 2
		.amdhsa_user_sgpr_dispatch_ptr 0
		.amdhsa_user_sgpr_queue_ptr 0
		.amdhsa_user_sgpr_kernarg_segment_ptr 1
		.amdhsa_user_sgpr_dispatch_id 0
		.amdhsa_user_sgpr_private_segment_size 0
		.amdhsa_wavefront_size32 1
		.amdhsa_uses_dynamic_stack 0
		.amdhsa_enable_private_segment 0
		.amdhsa_system_sgpr_workgroup_id_x 1
		.amdhsa_system_sgpr_workgroup_id_y 0
		.amdhsa_system_sgpr_workgroup_id_z 0
		.amdhsa_system_sgpr_workgroup_info 0
		.amdhsa_system_vgpr_workitem_id 0
		.amdhsa_next_free_vgpr 4
		.amdhsa_next_free_sgpr 8
		.amdhsa_reserve_vcc 1
		.amdhsa_float_round_mode_32 0
		.amdhsa_float_round_mode_16_64 0
		.amdhsa_float_denorm_mode_32 3
		.amdhsa_float_denorm_mode_16_64 3
		.amdhsa_fp16_overflow 0
		.amdhsa_workgroup_processor_mode 1
		.amdhsa_memory_ordered 1
		.amdhsa_forward_progress 1
		.amdhsa_inst_pref_size 2
		.amdhsa_round_robin_scheduling 0
		.amdhsa_exception_fp_ieee_invalid_op 0
		.amdhsa_exception_fp_denorm_src 0
		.amdhsa_exception_fp_ieee_div_zero 0
		.amdhsa_exception_fp_ieee_overflow 0
		.amdhsa_exception_fp_ieee_underflow 0
		.amdhsa_exception_fp_ieee_inexact 0
		.amdhsa_exception_int_div_zero 0
	.end_amdhsa_kernel
	.section	.text._Z6kernelI13subtract_leftLj256ELj1ELb0EJPiS1_jEEvDpT3_,"axG",@progbits,_Z6kernelI13subtract_leftLj256ELj1ELb0EJPiS1_jEEvDpT3_,comdat
.Lfunc_end0:
	.size	_Z6kernelI13subtract_leftLj256ELj1ELb0EJPiS1_jEEvDpT3_, .Lfunc_end0-_Z6kernelI13subtract_leftLj256ELj1ELb0EJPiS1_jEEvDpT3_
                                        ; -- End function
	.set _Z6kernelI13subtract_leftLj256ELj1ELb0EJPiS1_jEEvDpT3_.num_vgpr, 4
	.set _Z6kernelI13subtract_leftLj256ELj1ELb0EJPiS1_jEEvDpT3_.num_agpr, 0
	.set _Z6kernelI13subtract_leftLj256ELj1ELb0EJPiS1_jEEvDpT3_.numbered_sgpr, 8
	.set _Z6kernelI13subtract_leftLj256ELj1ELb0EJPiS1_jEEvDpT3_.num_named_barrier, 0
	.set _Z6kernelI13subtract_leftLj256ELj1ELb0EJPiS1_jEEvDpT3_.private_seg_size, 0
	.set _Z6kernelI13subtract_leftLj256ELj1ELb0EJPiS1_jEEvDpT3_.uses_vcc, 1
	.set _Z6kernelI13subtract_leftLj256ELj1ELb0EJPiS1_jEEvDpT3_.uses_flat_scratch, 0
	.set _Z6kernelI13subtract_leftLj256ELj1ELb0EJPiS1_jEEvDpT3_.has_dyn_sized_stack, 0
	.set _Z6kernelI13subtract_leftLj256ELj1ELb0EJPiS1_jEEvDpT3_.has_recursion, 0
	.set _Z6kernelI13subtract_leftLj256ELj1ELb0EJPiS1_jEEvDpT3_.has_indirect_call, 0
	.section	.AMDGPU.csdata,"",@progbits
; Kernel info:
; codeLenInByte = 212
; TotalNumSgprs: 10
; NumVgprs: 4
; ScratchSize: 0
; MemoryBound: 0
; FloatMode: 240
; IeeeMode: 1
; LDSByteSize: 2048 bytes/workgroup (compile time only)
; SGPRBlocks: 0
; VGPRBlocks: 0
; NumSGPRsForWavesPerEU: 10
; NumVGPRsForWavesPerEU: 4
; Occupancy: 16
; WaveLimiterHint : 0
; COMPUTE_PGM_RSRC2:SCRATCH_EN: 0
; COMPUTE_PGM_RSRC2:USER_SGPR: 2
; COMPUTE_PGM_RSRC2:TRAP_HANDLER: 0
; COMPUTE_PGM_RSRC2:TGID_X_EN: 1
; COMPUTE_PGM_RSRC2:TGID_Y_EN: 0
; COMPUTE_PGM_RSRC2:TGID_Z_EN: 0
; COMPUTE_PGM_RSRC2:TIDIG_COMP_CNT: 0
	.section	.text._Z6kernelI13subtract_leftLj256ELj3ELb0EJPiS1_jEEvDpT3_,"axG",@progbits,_Z6kernelI13subtract_leftLj256ELj3ELb0EJPiS1_jEEvDpT3_,comdat
	.protected	_Z6kernelI13subtract_leftLj256ELj3ELb0EJPiS1_jEEvDpT3_ ; -- Begin function _Z6kernelI13subtract_leftLj256ELj3ELb0EJPiS1_jEEvDpT3_
	.globl	_Z6kernelI13subtract_leftLj256ELj3ELb0EJPiS1_jEEvDpT3_
	.p2align	8
	.type	_Z6kernelI13subtract_leftLj256ELj3ELb0EJPiS1_jEEvDpT3_,@function
_Z6kernelI13subtract_leftLj256ELj3ELb0EJPiS1_jEEvDpT3_: ; @_Z6kernelI13subtract_leftLj256ELj3ELb0EJPiS1_jEEvDpT3_
; %bb.0:
	s_load_b128 s[4:7], s[0:1], 0x0
	s_mul_i32 s2, ttmp9, 0x300
	s_mov_b32 s3, 0
	v_lshlrev_b32_e32 v1, 2, v0
	s_lshl_b64 s[2:3], s[2:3], 2
	s_load_b32 s0, s[0:1], 0x10
	s_wait_kmcnt 0x0
	s_add_nc_u64 s[4:5], s[4:5], s[2:3]
	s_clause 0x2
	global_load_b32 v4, v1, s[4:5]
	global_load_b32 v3, v1, s[4:5] offset:1024
	global_load_b32 v2, v1, s[4:5] offset:2048
	s_cmp_eq_u32 s0, 0
	s_cbranch_scc1 .LBB1_5
; %bb.1:
	v_cmp_ne_u32_e32 vcc_lo, 0, v0
	v_add_nc_u32_e32 v0, -4, v1
	s_branch .LBB1_3
.LBB1_2:                                ;   in Loop: Header=BB1_3 Depth=1
	s_or_b32 exec_lo, exec_lo, s1
	v_sub_nc_u32_e32 v6, v3, v4
	v_sub_nc_u32_e32 v7, v2, v3
	v_add_nc_u32_e32 v4, v5, v4
	s_add_co_i32 s0, s0, -1
	s_wait_loadcnt 0x0
	v_add_nc_u32_e32 v3, v6, v3
	v_add_nc_u32_e32 v2, v7, v2
	s_cmp_lg_u32 s0, 0
	s_barrier_signal -1
	s_barrier_wait -1
	global_inv scope:SCOPE_SE
	s_cbranch_scc0 .LBB1_5
.LBB1_3:                                ; =>This Inner Loop Header: Depth=1
	s_wait_loadcnt 0x2
	v_mov_b32_e32 v5, v4
	s_wait_loadcnt 0x0
	ds_store_b32 v1, v2
	s_wait_dscnt 0x0
	s_barrier_signal -1
	s_barrier_wait -1
	global_inv scope:SCOPE_SE
	s_and_saveexec_b32 s1, vcc_lo
	s_cbranch_execz .LBB1_2
; %bb.4:                                ;   in Loop: Header=BB1_3 Depth=1
	ds_load_b32 v5, v0
	s_wait_dscnt 0x0
	v_sub_nc_u32_e32 v5, v4, v5
	s_branch .LBB1_2
.LBB1_5:
	s_add_nc_u64 s[0:1], s[6:7], s[2:3]
	s_wait_loadcnt 0x2
	global_store_b32 v1, v4, s[0:1]
	s_wait_loadcnt 0x1
	global_store_b32 v1, v3, s[0:1] offset:1024
	s_wait_loadcnt 0x0
	global_store_b32 v1, v2, s[0:1] offset:2048
	s_endpgm
	.section	.rodata,"a",@progbits
	.p2align	6, 0x0
	.amdhsa_kernel _Z6kernelI13subtract_leftLj256ELj3ELb0EJPiS1_jEEvDpT3_
		.amdhsa_group_segment_fixed_size 2048
		.amdhsa_private_segment_fixed_size 0
		.amdhsa_kernarg_size 20
		.amdhsa_user_sgpr_count 2
		.amdhsa_user_sgpr_dispatch_ptr 0
		.amdhsa_user_sgpr_queue_ptr 0
		.amdhsa_user_sgpr_kernarg_segment_ptr 1
		.amdhsa_user_sgpr_dispatch_id 0
		.amdhsa_user_sgpr_private_segment_size 0
		.amdhsa_wavefront_size32 1
		.amdhsa_uses_dynamic_stack 0
		.amdhsa_enable_private_segment 0
		.amdhsa_system_sgpr_workgroup_id_x 1
		.amdhsa_system_sgpr_workgroup_id_y 0
		.amdhsa_system_sgpr_workgroup_id_z 0
		.amdhsa_system_sgpr_workgroup_info 0
		.amdhsa_system_vgpr_workitem_id 0
		.amdhsa_next_free_vgpr 8
		.amdhsa_next_free_sgpr 8
		.amdhsa_reserve_vcc 1
		.amdhsa_float_round_mode_32 0
		.amdhsa_float_round_mode_16_64 0
		.amdhsa_float_denorm_mode_32 3
		.amdhsa_float_denorm_mode_16_64 3
		.amdhsa_fp16_overflow 0
		.amdhsa_workgroup_processor_mode 1
		.amdhsa_memory_ordered 1
		.amdhsa_forward_progress 1
		.amdhsa_inst_pref_size 3
		.amdhsa_round_robin_scheduling 0
		.amdhsa_exception_fp_ieee_invalid_op 0
		.amdhsa_exception_fp_denorm_src 0
		.amdhsa_exception_fp_ieee_div_zero 0
		.amdhsa_exception_fp_ieee_overflow 0
		.amdhsa_exception_fp_ieee_underflow 0
		.amdhsa_exception_fp_ieee_inexact 0
		.amdhsa_exception_int_div_zero 0
	.end_amdhsa_kernel
	.section	.text._Z6kernelI13subtract_leftLj256ELj3ELb0EJPiS1_jEEvDpT3_,"axG",@progbits,_Z6kernelI13subtract_leftLj256ELj3ELb0EJPiS1_jEEvDpT3_,comdat
.Lfunc_end1:
	.size	_Z6kernelI13subtract_leftLj256ELj3ELb0EJPiS1_jEEvDpT3_, .Lfunc_end1-_Z6kernelI13subtract_leftLj256ELj3ELb0EJPiS1_jEEvDpT3_
                                        ; -- End function
	.set _Z6kernelI13subtract_leftLj256ELj3ELb0EJPiS1_jEEvDpT3_.num_vgpr, 8
	.set _Z6kernelI13subtract_leftLj256ELj3ELb0EJPiS1_jEEvDpT3_.num_agpr, 0
	.set _Z6kernelI13subtract_leftLj256ELj3ELb0EJPiS1_jEEvDpT3_.numbered_sgpr, 8
	.set _Z6kernelI13subtract_leftLj256ELj3ELb0EJPiS1_jEEvDpT3_.num_named_barrier, 0
	.set _Z6kernelI13subtract_leftLj256ELj3ELb0EJPiS1_jEEvDpT3_.private_seg_size, 0
	.set _Z6kernelI13subtract_leftLj256ELj3ELb0EJPiS1_jEEvDpT3_.uses_vcc, 1
	.set _Z6kernelI13subtract_leftLj256ELj3ELb0EJPiS1_jEEvDpT3_.uses_flat_scratch, 0
	.set _Z6kernelI13subtract_leftLj256ELj3ELb0EJPiS1_jEEvDpT3_.has_dyn_sized_stack, 0
	.set _Z6kernelI13subtract_leftLj256ELj3ELb0EJPiS1_jEEvDpT3_.has_recursion, 0
	.set _Z6kernelI13subtract_leftLj256ELj3ELb0EJPiS1_jEEvDpT3_.has_indirect_call, 0
	.section	.AMDGPU.csdata,"",@progbits
; Kernel info:
; codeLenInByte = 292
; TotalNumSgprs: 10
; NumVgprs: 8
; ScratchSize: 0
; MemoryBound: 0
; FloatMode: 240
; IeeeMode: 1
; LDSByteSize: 2048 bytes/workgroup (compile time only)
; SGPRBlocks: 0
; VGPRBlocks: 0
; NumSGPRsForWavesPerEU: 10
; NumVGPRsForWavesPerEU: 8
; Occupancy: 16
; WaveLimiterHint : 1
; COMPUTE_PGM_RSRC2:SCRATCH_EN: 0
; COMPUTE_PGM_RSRC2:USER_SGPR: 2
; COMPUTE_PGM_RSRC2:TRAP_HANDLER: 0
; COMPUTE_PGM_RSRC2:TGID_X_EN: 1
; COMPUTE_PGM_RSRC2:TGID_Y_EN: 0
; COMPUTE_PGM_RSRC2:TGID_Z_EN: 0
; COMPUTE_PGM_RSRC2:TIDIG_COMP_CNT: 0
	.section	.text._Z6kernelI13subtract_leftLj256ELj4ELb0EJPiS1_jEEvDpT3_,"axG",@progbits,_Z6kernelI13subtract_leftLj256ELj4ELb0EJPiS1_jEEvDpT3_,comdat
	.protected	_Z6kernelI13subtract_leftLj256ELj4ELb0EJPiS1_jEEvDpT3_ ; -- Begin function _Z6kernelI13subtract_leftLj256ELj4ELb0EJPiS1_jEEvDpT3_
	.globl	_Z6kernelI13subtract_leftLj256ELj4ELb0EJPiS1_jEEvDpT3_
	.p2align	8
	.type	_Z6kernelI13subtract_leftLj256ELj4ELb0EJPiS1_jEEvDpT3_,@function
_Z6kernelI13subtract_leftLj256ELj4ELb0EJPiS1_jEEvDpT3_: ; @_Z6kernelI13subtract_leftLj256ELj4ELb0EJPiS1_jEEvDpT3_
; %bb.0:
	s_load_b128 s[4:7], s[0:1], 0x0
	s_lshl_b32 s2, ttmp9, 10
	s_mov_b32 s3, 0
	v_lshlrev_b32_e32 v1, 2, v0
	s_lshl_b64 s[2:3], s[2:3], 2
	s_load_b32 s0, s[0:1], 0x10
	s_wait_kmcnt 0x0
	s_add_nc_u64 s[4:5], s[4:5], s[2:3]
	s_clause 0x3
	global_load_b32 v5, v1, s[4:5]
	global_load_b32 v4, v1, s[4:5] offset:1024
	global_load_b32 v3, v1, s[4:5] offset:2048
	;; [unrolled: 1-line block ×3, first 2 shown]
	s_cmp_eq_u32 s0, 0
	s_cbranch_scc1 .LBB2_5
; %bb.1:
	v_cmp_ne_u32_e32 vcc_lo, 0, v0
	v_add_nc_u32_e32 v0, -4, v1
	s_branch .LBB2_3
.LBB2_2:                                ;   in Loop: Header=BB2_3 Depth=1
	s_or_b32 exec_lo, exec_lo, s1
	v_sub_nc_u32_e32 v7, v4, v5
	v_sub_nc_u32_e32 v8, v3, v4
	;; [unrolled: 1-line block ×3, first 2 shown]
	v_add_nc_u32_e32 v5, v6, v5
	s_add_co_i32 s0, s0, -1
	v_add_nc_u32_e32 v4, v7, v4
	v_add_nc_u32_e32 v3, v8, v3
	;; [unrolled: 1-line block ×3, first 2 shown]
	s_cmp_lg_u32 s0, 0
	s_wait_loadcnt 0x0
	s_barrier_signal -1
	s_barrier_wait -1
	global_inv scope:SCOPE_SE
	s_cbranch_scc0 .LBB2_5
.LBB2_3:                                ; =>This Inner Loop Header: Depth=1
	s_wait_loadcnt 0x3
	v_mov_b32_e32 v6, v5
	s_wait_loadcnt 0x0
	ds_store_b32 v1, v2
	s_wait_dscnt 0x0
	s_barrier_signal -1
	s_barrier_wait -1
	global_inv scope:SCOPE_SE
	s_and_saveexec_b32 s1, vcc_lo
	s_cbranch_execz .LBB2_2
; %bb.4:                                ;   in Loop: Header=BB2_3 Depth=1
	ds_load_b32 v6, v0
	s_wait_dscnt 0x0
	v_sub_nc_u32_e32 v6, v5, v6
	s_branch .LBB2_2
.LBB2_5:
	s_add_nc_u64 s[0:1], s[6:7], s[2:3]
	s_wait_loadcnt 0x3
	global_store_b32 v1, v5, s[0:1]
	s_wait_loadcnt 0x2
	global_store_b32 v1, v4, s[0:1] offset:1024
	s_wait_loadcnt 0x1
	global_store_b32 v1, v3, s[0:1] offset:2048
	;; [unrolled: 2-line block ×3, first 2 shown]
	s_endpgm
	.section	.rodata,"a",@progbits
	.p2align	6, 0x0
	.amdhsa_kernel _Z6kernelI13subtract_leftLj256ELj4ELb0EJPiS1_jEEvDpT3_
		.amdhsa_group_segment_fixed_size 2048
		.amdhsa_private_segment_fixed_size 0
		.amdhsa_kernarg_size 20
		.amdhsa_user_sgpr_count 2
		.amdhsa_user_sgpr_dispatch_ptr 0
		.amdhsa_user_sgpr_queue_ptr 0
		.amdhsa_user_sgpr_kernarg_segment_ptr 1
		.amdhsa_user_sgpr_dispatch_id 0
		.amdhsa_user_sgpr_private_segment_size 0
		.amdhsa_wavefront_size32 1
		.amdhsa_uses_dynamic_stack 0
		.amdhsa_enable_private_segment 0
		.amdhsa_system_sgpr_workgroup_id_x 1
		.amdhsa_system_sgpr_workgroup_id_y 0
		.amdhsa_system_sgpr_workgroup_id_z 0
		.amdhsa_system_sgpr_workgroup_info 0
		.amdhsa_system_vgpr_workitem_id 0
		.amdhsa_next_free_vgpr 10
		.amdhsa_next_free_sgpr 8
		.amdhsa_reserve_vcc 1
		.amdhsa_float_round_mode_32 0
		.amdhsa_float_round_mode_16_64 0
		.amdhsa_float_denorm_mode_32 3
		.amdhsa_float_denorm_mode_16_64 3
		.amdhsa_fp16_overflow 0
		.amdhsa_workgroup_processor_mode 1
		.amdhsa_memory_ordered 1
		.amdhsa_forward_progress 1
		.amdhsa_inst_pref_size 3
		.amdhsa_round_robin_scheduling 0
		.amdhsa_exception_fp_ieee_invalid_op 0
		.amdhsa_exception_fp_denorm_src 0
		.amdhsa_exception_fp_ieee_div_zero 0
		.amdhsa_exception_fp_ieee_overflow 0
		.amdhsa_exception_fp_ieee_underflow 0
		.amdhsa_exception_fp_ieee_inexact 0
		.amdhsa_exception_int_div_zero 0
	.end_amdhsa_kernel
	.section	.text._Z6kernelI13subtract_leftLj256ELj4ELb0EJPiS1_jEEvDpT3_,"axG",@progbits,_Z6kernelI13subtract_leftLj256ELj4ELb0EJPiS1_jEEvDpT3_,comdat
.Lfunc_end2:
	.size	_Z6kernelI13subtract_leftLj256ELj4ELb0EJPiS1_jEEvDpT3_, .Lfunc_end2-_Z6kernelI13subtract_leftLj256ELj4ELb0EJPiS1_jEEvDpT3_
                                        ; -- End function
	.set _Z6kernelI13subtract_leftLj256ELj4ELb0EJPiS1_jEEvDpT3_.num_vgpr, 10
	.set _Z6kernelI13subtract_leftLj256ELj4ELb0EJPiS1_jEEvDpT3_.num_agpr, 0
	.set _Z6kernelI13subtract_leftLj256ELj4ELb0EJPiS1_jEEvDpT3_.numbered_sgpr, 8
	.set _Z6kernelI13subtract_leftLj256ELj4ELb0EJPiS1_jEEvDpT3_.num_named_barrier, 0
	.set _Z6kernelI13subtract_leftLj256ELj4ELb0EJPiS1_jEEvDpT3_.private_seg_size, 0
	.set _Z6kernelI13subtract_leftLj256ELj4ELb0EJPiS1_jEEvDpT3_.uses_vcc, 1
	.set _Z6kernelI13subtract_leftLj256ELj4ELb0EJPiS1_jEEvDpT3_.uses_flat_scratch, 0
	.set _Z6kernelI13subtract_leftLj256ELj4ELb0EJPiS1_jEEvDpT3_.has_dyn_sized_stack, 0
	.set _Z6kernelI13subtract_leftLj256ELj4ELb0EJPiS1_jEEvDpT3_.has_recursion, 0
	.set _Z6kernelI13subtract_leftLj256ELj4ELb0EJPiS1_jEEvDpT3_.has_indirect_call, 0
	.section	.AMDGPU.csdata,"",@progbits
; Kernel info:
; codeLenInByte = 324
; TotalNumSgprs: 10
; NumVgprs: 10
; ScratchSize: 0
; MemoryBound: 0
; FloatMode: 240
; IeeeMode: 1
; LDSByteSize: 2048 bytes/workgroup (compile time only)
; SGPRBlocks: 0
; VGPRBlocks: 1
; NumSGPRsForWavesPerEU: 10
; NumVGPRsForWavesPerEU: 10
; Occupancy: 16
; WaveLimiterHint : 1
; COMPUTE_PGM_RSRC2:SCRATCH_EN: 0
; COMPUTE_PGM_RSRC2:USER_SGPR: 2
; COMPUTE_PGM_RSRC2:TRAP_HANDLER: 0
; COMPUTE_PGM_RSRC2:TGID_X_EN: 1
; COMPUTE_PGM_RSRC2:TGID_Y_EN: 0
; COMPUTE_PGM_RSRC2:TGID_Z_EN: 0
; COMPUTE_PGM_RSRC2:TIDIG_COMP_CNT: 0
	.section	.text._Z6kernelI13subtract_leftLj256ELj8ELb0EJPiS1_jEEvDpT3_,"axG",@progbits,_Z6kernelI13subtract_leftLj256ELj8ELb0EJPiS1_jEEvDpT3_,comdat
	.protected	_Z6kernelI13subtract_leftLj256ELj8ELb0EJPiS1_jEEvDpT3_ ; -- Begin function _Z6kernelI13subtract_leftLj256ELj8ELb0EJPiS1_jEEvDpT3_
	.globl	_Z6kernelI13subtract_leftLj256ELj8ELb0EJPiS1_jEEvDpT3_
	.p2align	8
	.type	_Z6kernelI13subtract_leftLj256ELj8ELb0EJPiS1_jEEvDpT3_,@function
_Z6kernelI13subtract_leftLj256ELj8ELb0EJPiS1_jEEvDpT3_: ; @_Z6kernelI13subtract_leftLj256ELj8ELb0EJPiS1_jEEvDpT3_
; %bb.0:
	s_load_b128 s[4:7], s[0:1], 0x0
	s_lshl_b32 s2, ttmp9, 11
	s_mov_b32 s3, 0
	v_lshlrev_b32_e32 v1, 2, v0
	s_lshl_b64 s[2:3], s[2:3], 2
	s_load_b32 s0, s[0:1], 0x10
	s_wait_kmcnt 0x0
	s_add_nc_u64 s[4:5], s[4:5], s[2:3]
	s_clause 0x7
	global_load_b32 v5, v1, s[4:5]
	global_load_b32 v7, v1, s[4:5] offset:1024
	global_load_b32 v3, v1, s[4:5] offset:2048
	;; [unrolled: 1-line block ×7, first 2 shown]
	s_cmp_eq_u32 s0, 0
	s_cbranch_scc1 .LBB3_6
; %bb.1:
	v_cmp_ne_u32_e32 vcc_lo, 0, v0
	v_add_nc_u32_e32 v0, -4, v1
.LBB3_2:                                ; =>This Inner Loop Header: Depth=1
	s_wait_loadcnt 0x7
	v_mov_b32_e32 v10, v5
	s_wait_loadcnt 0x0
	ds_store_b32 v1, v2
	s_wait_dscnt 0x0
	s_barrier_signal -1
	s_barrier_wait -1
	global_inv scope:SCOPE_SE
	s_and_saveexec_b32 s1, vcc_lo
	s_cbranch_execz .LBB3_4
; %bb.3:                                ;   in Loop: Header=BB3_2 Depth=1
	ds_load_b32 v10, v0
	s_wait_dscnt 0x0
	v_sub_nc_u32_e32 v10, v5, v10
.LBB3_4:                                ;   in Loop: Header=BB3_2 Depth=1
	s_or_b32 exec_lo, exec_lo, s1
	v_lshlrev_b32_e32 v11, 1, v7
	v_lshlrev_b32_e32 v12, 1, v3
	s_delay_alu instid0(VALU_DEP_3)
	v_add_nc_u32_e32 v14, v10, v5
	v_lshlrev_b32_e32 v10, 1, v4
	v_lshlrev_b32_e32 v17, 1, v9
	v_sub_nc_u32_e32 v13, v11, v5
	v_sub_nc_u32_e32 v11, v12, v7
	v_lshlrev_b32_e32 v5, 1, v6
	v_lshlrev_b32_e32 v7, 1, v8
	;; [unrolled: 1-line block ×3, first 2 shown]
	v_sub_nc_u32_e32 v16, v10, v3
	v_sub_nc_u32_e32 v10, v17, v8
	;; [unrolled: 1-line block ×5, first 2 shown]
	s_add_co_i32 s0, s0, -1
	s_wait_loadcnt 0x0
	s_cmp_lg_u32 s0, 0
	s_barrier_signal -1
	s_barrier_wait -1
	global_inv scope:SCOPE_SE
	s_cbranch_scc0 .LBB3_7
; %bb.5:                                ;   in Loop: Header=BB3_2 Depth=1
	v_dual_mov_b32 v5, v14 :: v_dual_mov_b32 v4, v16
	v_dual_mov_b32 v7, v13 :: v_dual_mov_b32 v6, v15
	;; [unrolled: 1-line block ×3, first 2 shown]
	v_mov_b32_e32 v9, v10
	s_branch .LBB3_2
.LBB3_6:
	s_wait_loadcnt 0x1
	v_dual_mov_b32 v10, v9 :: v_dual_mov_b32 v15, v6
	v_dual_mov_b32 v12, v8 :: v_dual_mov_b32 v11, v3
	;; [unrolled: 1-line block ×3, first 2 shown]
	v_mov_b32_e32 v14, v5
.LBB3_7:
	s_add_nc_u64 s[0:1], s[6:7], s[2:3]
	s_clause 0x6
	global_store_b32 v1, v14, s[0:1]
	global_store_b32 v1, v13, s[0:1] offset:1024
	global_store_b32 v1, v11, s[0:1] offset:2048
	;; [unrolled: 1-line block ×6, first 2 shown]
	s_wait_loadcnt 0x0
	global_store_b32 v1, v2, s[0:1] offset:7168
	s_endpgm
	.section	.rodata,"a",@progbits
	.p2align	6, 0x0
	.amdhsa_kernel _Z6kernelI13subtract_leftLj256ELj8ELb0EJPiS1_jEEvDpT3_
		.amdhsa_group_segment_fixed_size 2048
		.amdhsa_private_segment_fixed_size 0
		.amdhsa_kernarg_size 20
		.amdhsa_user_sgpr_count 2
		.amdhsa_user_sgpr_dispatch_ptr 0
		.amdhsa_user_sgpr_queue_ptr 0
		.amdhsa_user_sgpr_kernarg_segment_ptr 1
		.amdhsa_user_sgpr_dispatch_id 0
		.amdhsa_user_sgpr_private_segment_size 0
		.amdhsa_wavefront_size32 1
		.amdhsa_uses_dynamic_stack 0
		.amdhsa_enable_private_segment 0
		.amdhsa_system_sgpr_workgroup_id_x 1
		.amdhsa_system_sgpr_workgroup_id_y 0
		.amdhsa_system_sgpr_workgroup_id_z 0
		.amdhsa_system_sgpr_workgroup_info 0
		.amdhsa_system_vgpr_workitem_id 0
		.amdhsa_next_free_vgpr 18
		.amdhsa_next_free_sgpr 8
		.amdhsa_reserve_vcc 1
		.amdhsa_float_round_mode_32 0
		.amdhsa_float_round_mode_16_64 0
		.amdhsa_float_denorm_mode_32 3
		.amdhsa_float_denorm_mode_16_64 3
		.amdhsa_fp16_overflow 0
		.amdhsa_workgroup_processor_mode 1
		.amdhsa_memory_ordered 1
		.amdhsa_forward_progress 1
		.amdhsa_inst_pref_size 4
		.amdhsa_round_robin_scheduling 0
		.amdhsa_exception_fp_ieee_invalid_op 0
		.amdhsa_exception_fp_denorm_src 0
		.amdhsa_exception_fp_ieee_div_zero 0
		.amdhsa_exception_fp_ieee_overflow 0
		.amdhsa_exception_fp_ieee_underflow 0
		.amdhsa_exception_fp_ieee_inexact 0
		.amdhsa_exception_int_div_zero 0
	.end_amdhsa_kernel
	.section	.text._Z6kernelI13subtract_leftLj256ELj8ELb0EJPiS1_jEEvDpT3_,"axG",@progbits,_Z6kernelI13subtract_leftLj256ELj8ELb0EJPiS1_jEEvDpT3_,comdat
.Lfunc_end3:
	.size	_Z6kernelI13subtract_leftLj256ELj8ELb0EJPiS1_jEEvDpT3_, .Lfunc_end3-_Z6kernelI13subtract_leftLj256ELj8ELb0EJPiS1_jEEvDpT3_
                                        ; -- End function
	.set _Z6kernelI13subtract_leftLj256ELj8ELb0EJPiS1_jEEvDpT3_.num_vgpr, 18
	.set _Z6kernelI13subtract_leftLj256ELj8ELb0EJPiS1_jEEvDpT3_.num_agpr, 0
	.set _Z6kernelI13subtract_leftLj256ELj8ELb0EJPiS1_jEEvDpT3_.numbered_sgpr, 8
	.set _Z6kernelI13subtract_leftLj256ELj8ELb0EJPiS1_jEEvDpT3_.num_named_barrier, 0
	.set _Z6kernelI13subtract_leftLj256ELj8ELb0EJPiS1_jEEvDpT3_.private_seg_size, 0
	.set _Z6kernelI13subtract_leftLj256ELj8ELb0EJPiS1_jEEvDpT3_.uses_vcc, 1
	.set _Z6kernelI13subtract_leftLj256ELj8ELb0EJPiS1_jEEvDpT3_.uses_flat_scratch, 0
	.set _Z6kernelI13subtract_leftLj256ELj8ELb0EJPiS1_jEEvDpT3_.has_dyn_sized_stack, 0
	.set _Z6kernelI13subtract_leftLj256ELj8ELb0EJPiS1_jEEvDpT3_.has_recursion, 0
	.set _Z6kernelI13subtract_leftLj256ELj8ELb0EJPiS1_jEEvDpT3_.has_indirect_call, 0
	.section	.AMDGPU.csdata,"",@progbits
; Kernel info:
; codeLenInByte = 504
; TotalNumSgprs: 10
; NumVgprs: 18
; ScratchSize: 0
; MemoryBound: 0
; FloatMode: 240
; IeeeMode: 1
; LDSByteSize: 2048 bytes/workgroup (compile time only)
; SGPRBlocks: 0
; VGPRBlocks: 2
; NumSGPRsForWavesPerEU: 10
; NumVGPRsForWavesPerEU: 18
; Occupancy: 16
; WaveLimiterHint : 1
; COMPUTE_PGM_RSRC2:SCRATCH_EN: 0
; COMPUTE_PGM_RSRC2:USER_SGPR: 2
; COMPUTE_PGM_RSRC2:TRAP_HANDLER: 0
; COMPUTE_PGM_RSRC2:TGID_X_EN: 1
; COMPUTE_PGM_RSRC2:TGID_Y_EN: 0
; COMPUTE_PGM_RSRC2:TGID_Z_EN: 0
; COMPUTE_PGM_RSRC2:TIDIG_COMP_CNT: 0
	.section	.text._Z6kernelI13subtract_leftLj256ELj16ELb0EJPiS1_jEEvDpT3_,"axG",@progbits,_Z6kernelI13subtract_leftLj256ELj16ELb0EJPiS1_jEEvDpT3_,comdat
	.protected	_Z6kernelI13subtract_leftLj256ELj16ELb0EJPiS1_jEEvDpT3_ ; -- Begin function _Z6kernelI13subtract_leftLj256ELj16ELb0EJPiS1_jEEvDpT3_
	.globl	_Z6kernelI13subtract_leftLj256ELj16ELb0EJPiS1_jEEvDpT3_
	.p2align	8
	.type	_Z6kernelI13subtract_leftLj256ELj16ELb0EJPiS1_jEEvDpT3_,@function
_Z6kernelI13subtract_leftLj256ELj16ELb0EJPiS1_jEEvDpT3_: ; @_Z6kernelI13subtract_leftLj256ELj16ELb0EJPiS1_jEEvDpT3_
; %bb.0:
	s_load_b128 s[4:7], s[0:1], 0x0
	s_lshl_b32 s2, ttmp9, 12
	s_mov_b32 s3, 0
	v_lshlrev_b32_e32 v1, 2, v0
	s_lshl_b64 s[2:3], s[2:3], 2
	s_load_b32 s0, s[0:1], 0x10
	s_wait_kmcnt 0x0
	s_add_nc_u64 s[4:5], s[4:5], s[2:3]
	s_clause 0xf
	global_load_b32 v17, v1, s[4:5]
	global_load_b32 v16, v1, s[4:5] offset:1024
	global_load_b32 v15, v1, s[4:5] offset:2048
	;; [unrolled: 1-line block ×15, first 2 shown]
	s_cmp_eq_u32 s0, 0
	s_cbranch_scc1 .LBB4_5
; %bb.1:
	v_cmp_ne_u32_e32 vcc_lo, 0, v0
	v_add_nc_u32_e32 v0, -4, v1
	s_branch .LBB4_3
.LBB4_2:                                ;   in Loop: Header=BB4_3 Depth=1
	s_or_b32 exec_lo, exec_lo, s1
	v_sub_nc_u32_e32 v19, v2, v3
	v_sub_nc_u32_e32 v20, v3, v4
	;; [unrolled: 1-line block ×15, first 2 shown]
	v_add_nc_u32_e32 v17, v18, v17
	v_add_nc_u32_e32 v16, v30, v16
	;; [unrolled: 1-line block ×16, first 2 shown]
	s_add_co_i32 s0, s0, -1
	s_wait_loadcnt 0x0
	s_cmp_lg_u32 s0, 0
	s_barrier_signal -1
	s_barrier_wait -1
	global_inv scope:SCOPE_SE
	s_cbranch_scc0 .LBB4_5
.LBB4_3:                                ; =>This Inner Loop Header: Depth=1
	s_wait_loadcnt 0xf
	v_mov_b32_e32 v18, v17
	s_wait_loadcnt 0x0
	ds_store_b32 v1, v2
	s_wait_dscnt 0x0
	s_barrier_signal -1
	s_barrier_wait -1
	global_inv scope:SCOPE_SE
	s_and_saveexec_b32 s1, vcc_lo
	s_cbranch_execz .LBB4_2
; %bb.4:                                ;   in Loop: Header=BB4_3 Depth=1
	ds_load_b32 v18, v0
	s_wait_dscnt 0x0
	v_sub_nc_u32_e32 v18, v17, v18
	s_branch .LBB4_2
.LBB4_5:
	s_add_nc_u64 s[0:1], s[6:7], s[2:3]
	s_wait_loadcnt 0xf
	global_store_b32 v1, v17, s[0:1]
	s_wait_loadcnt 0xe
	global_store_b32 v1, v16, s[0:1] offset:1024
	s_wait_loadcnt 0xd
	global_store_b32 v1, v15, s[0:1] offset:2048
	;; [unrolled: 2-line block ×15, first 2 shown]
	s_endpgm
	.section	.rodata,"a",@progbits
	.p2align	6, 0x0
	.amdhsa_kernel _Z6kernelI13subtract_leftLj256ELj16ELb0EJPiS1_jEEvDpT3_
		.amdhsa_group_segment_fixed_size 2048
		.amdhsa_private_segment_fixed_size 0
		.amdhsa_kernarg_size 20
		.amdhsa_user_sgpr_count 2
		.amdhsa_user_sgpr_dispatch_ptr 0
		.amdhsa_user_sgpr_queue_ptr 0
		.amdhsa_user_sgpr_kernarg_segment_ptr 1
		.amdhsa_user_sgpr_dispatch_id 0
		.amdhsa_user_sgpr_private_segment_size 0
		.amdhsa_wavefront_size32 1
		.amdhsa_uses_dynamic_stack 0
		.amdhsa_enable_private_segment 0
		.amdhsa_system_sgpr_workgroup_id_x 1
		.amdhsa_system_sgpr_workgroup_id_y 0
		.amdhsa_system_sgpr_workgroup_id_z 0
		.amdhsa_system_sgpr_workgroup_info 0
		.amdhsa_system_vgpr_workitem_id 0
		.amdhsa_next_free_vgpr 34
		.amdhsa_next_free_sgpr 8
		.amdhsa_reserve_vcc 1
		.amdhsa_float_round_mode_32 0
		.amdhsa_float_round_mode_16_64 0
		.amdhsa_float_denorm_mode_32 3
		.amdhsa_float_denorm_mode_16_64 3
		.amdhsa_fp16_overflow 0
		.amdhsa_workgroup_processor_mode 1
		.amdhsa_memory_ordered 1
		.amdhsa_forward_progress 1
		.amdhsa_inst_pref_size 6
		.amdhsa_round_robin_scheduling 0
		.amdhsa_exception_fp_ieee_invalid_op 0
		.amdhsa_exception_fp_denorm_src 0
		.amdhsa_exception_fp_ieee_div_zero 0
		.amdhsa_exception_fp_ieee_overflow 0
		.amdhsa_exception_fp_ieee_underflow 0
		.amdhsa_exception_fp_ieee_inexact 0
		.amdhsa_exception_int_div_zero 0
	.end_amdhsa_kernel
	.section	.text._Z6kernelI13subtract_leftLj256ELj16ELb0EJPiS1_jEEvDpT3_,"axG",@progbits,_Z6kernelI13subtract_leftLj256ELj16ELb0EJPiS1_jEEvDpT3_,comdat
.Lfunc_end4:
	.size	_Z6kernelI13subtract_leftLj256ELj16ELb0EJPiS1_jEEvDpT3_, .Lfunc_end4-_Z6kernelI13subtract_leftLj256ELj16ELb0EJPiS1_jEEvDpT3_
                                        ; -- End function
	.set _Z6kernelI13subtract_leftLj256ELj16ELb0EJPiS1_jEEvDpT3_.num_vgpr, 34
	.set _Z6kernelI13subtract_leftLj256ELj16ELb0EJPiS1_jEEvDpT3_.num_agpr, 0
	.set _Z6kernelI13subtract_leftLj256ELj16ELb0EJPiS1_jEEvDpT3_.numbered_sgpr, 8
	.set _Z6kernelI13subtract_leftLj256ELj16ELb0EJPiS1_jEEvDpT3_.num_named_barrier, 0
	.set _Z6kernelI13subtract_leftLj256ELj16ELb0EJPiS1_jEEvDpT3_.private_seg_size, 0
	.set _Z6kernelI13subtract_leftLj256ELj16ELb0EJPiS1_jEEvDpT3_.uses_vcc, 1
	.set _Z6kernelI13subtract_leftLj256ELj16ELb0EJPiS1_jEEvDpT3_.uses_flat_scratch, 0
	.set _Z6kernelI13subtract_leftLj256ELj16ELb0EJPiS1_jEEvDpT3_.has_dyn_sized_stack, 0
	.set _Z6kernelI13subtract_leftLj256ELj16ELb0EJPiS1_jEEvDpT3_.has_recursion, 0
	.set _Z6kernelI13subtract_leftLj256ELj16ELb0EJPiS1_jEEvDpT3_.has_indirect_call, 0
	.section	.AMDGPU.csdata,"",@progbits
; Kernel info:
; codeLenInByte = 756
; TotalNumSgprs: 10
; NumVgprs: 34
; ScratchSize: 0
; MemoryBound: 0
; FloatMode: 240
; IeeeMode: 1
; LDSByteSize: 2048 bytes/workgroup (compile time only)
; SGPRBlocks: 0
; VGPRBlocks: 4
; NumSGPRsForWavesPerEU: 10
; NumVGPRsForWavesPerEU: 34
; Occupancy: 16
; WaveLimiterHint : 1
; COMPUTE_PGM_RSRC2:SCRATCH_EN: 0
; COMPUTE_PGM_RSRC2:USER_SGPR: 2
; COMPUTE_PGM_RSRC2:TRAP_HANDLER: 0
; COMPUTE_PGM_RSRC2:TGID_X_EN: 1
; COMPUTE_PGM_RSRC2:TGID_Y_EN: 0
; COMPUTE_PGM_RSRC2:TGID_Z_EN: 0
; COMPUTE_PGM_RSRC2:TIDIG_COMP_CNT: 0
	.section	.text._Z6kernelI13subtract_leftLj256ELj32ELb0EJPiS1_jEEvDpT3_,"axG",@progbits,_Z6kernelI13subtract_leftLj256ELj32ELb0EJPiS1_jEEvDpT3_,comdat
	.protected	_Z6kernelI13subtract_leftLj256ELj32ELb0EJPiS1_jEEvDpT3_ ; -- Begin function _Z6kernelI13subtract_leftLj256ELj32ELb0EJPiS1_jEEvDpT3_
	.globl	_Z6kernelI13subtract_leftLj256ELj32ELb0EJPiS1_jEEvDpT3_
	.p2align	8
	.type	_Z6kernelI13subtract_leftLj256ELj32ELb0EJPiS1_jEEvDpT3_,@function
_Z6kernelI13subtract_leftLj256ELj32ELb0EJPiS1_jEEvDpT3_: ; @_Z6kernelI13subtract_leftLj256ELj32ELb0EJPiS1_jEEvDpT3_
; %bb.0:
	s_load_b128 s[4:7], s[0:1], 0x0
	s_lshl_b32 s2, ttmp9, 13
	s_mov_b32 s3, 0
	v_lshlrev_b32_e32 v1, 2, v0
	s_lshl_b64 s[2:3], s[2:3], 2
	s_load_b32 s0, s[0:1], 0x10
	s_wait_kmcnt 0x0
	s_add_nc_u64 s[4:5], s[4:5], s[2:3]
	s_clause 0x1f
	global_load_b32 v33, v1, s[4:5]
	global_load_b32 v32, v1, s[4:5] offset:1024
	global_load_b32 v31, v1, s[4:5] offset:2048
	;; [unrolled: 1-line block ×31, first 2 shown]
	s_cmp_eq_u32 s0, 0
	s_cbranch_scc1 .LBB5_5
; %bb.1:
	v_cmp_ne_u32_e32 vcc_lo, 0, v0
	v_add_nc_u32_e32 v0, -4, v1
	s_branch .LBB5_3
.LBB5_2:                                ;   in Loop: Header=BB5_3 Depth=1
	s_or_b32 exec_lo, exec_lo, s1
	v_sub_nc_u32_e32 v35, v2, v3
	v_sub_nc_u32_e32 v36, v3, v4
	;; [unrolled: 1-line block ×31, first 2 shown]
	v_add_nc_u32_e32 v33, v34, v33
	v_add_nc_u32_e32 v32, v62, v32
	;; [unrolled: 1-line block ×32, first 2 shown]
	s_add_co_i32 s0, s0, -1
	s_wait_loadcnt 0x0
	s_cmp_lg_u32 s0, 0
	s_barrier_signal -1
	s_barrier_wait -1
	global_inv scope:SCOPE_SE
	s_cbranch_scc0 .LBB5_5
.LBB5_3:                                ; =>This Inner Loop Header: Depth=1
	s_wait_loadcnt 0x1f
	v_mov_b32_e32 v34, v33
	s_wait_loadcnt 0x0
	ds_store_b32 v1, v2
	s_wait_dscnt 0x0
	s_barrier_signal -1
	s_barrier_wait -1
	global_inv scope:SCOPE_SE
	s_and_saveexec_b32 s1, vcc_lo
	s_cbranch_execz .LBB5_2
; %bb.4:                                ;   in Loop: Header=BB5_3 Depth=1
	ds_load_b32 v34, v0
	s_wait_dscnt 0x0
	v_sub_nc_u32_e32 v34, v33, v34
	s_branch .LBB5_2
.LBB5_5:
	s_add_nc_u64 s[0:1], s[6:7], s[2:3]
	s_wait_loadcnt 0x1f
	global_store_b32 v1, v33, s[0:1]
	s_wait_loadcnt 0x1e
	global_store_b32 v1, v32, s[0:1] offset:1024
	s_wait_loadcnt 0x1d
	global_store_b32 v1, v31, s[0:1] offset:2048
	;; [unrolled: 2-line block ×31, first 2 shown]
	s_endpgm
	.section	.rodata,"a",@progbits
	.p2align	6, 0x0
	.amdhsa_kernel _Z6kernelI13subtract_leftLj256ELj32ELb0EJPiS1_jEEvDpT3_
		.amdhsa_group_segment_fixed_size 2048
		.amdhsa_private_segment_fixed_size 0
		.amdhsa_kernarg_size 20
		.amdhsa_user_sgpr_count 2
		.amdhsa_user_sgpr_dispatch_ptr 0
		.amdhsa_user_sgpr_queue_ptr 0
		.amdhsa_user_sgpr_kernarg_segment_ptr 1
		.amdhsa_user_sgpr_dispatch_id 0
		.amdhsa_user_sgpr_private_segment_size 0
		.amdhsa_wavefront_size32 1
		.amdhsa_uses_dynamic_stack 0
		.amdhsa_enable_private_segment 0
		.amdhsa_system_sgpr_workgroup_id_x 1
		.amdhsa_system_sgpr_workgroup_id_y 0
		.amdhsa_system_sgpr_workgroup_id_z 0
		.amdhsa_system_sgpr_workgroup_info 0
		.amdhsa_system_vgpr_workitem_id 0
		.amdhsa_next_free_vgpr 66
		.amdhsa_next_free_sgpr 8
		.amdhsa_reserve_vcc 1
		.amdhsa_float_round_mode_32 0
		.amdhsa_float_round_mode_16_64 0
		.amdhsa_float_denorm_mode_32 3
		.amdhsa_float_denorm_mode_16_64 3
		.amdhsa_fp16_overflow 0
		.amdhsa_workgroup_processor_mode 1
		.amdhsa_memory_ordered 1
		.amdhsa_forward_progress 1
		.amdhsa_inst_pref_size 11
		.amdhsa_round_robin_scheduling 0
		.amdhsa_exception_fp_ieee_invalid_op 0
		.amdhsa_exception_fp_denorm_src 0
		.amdhsa_exception_fp_ieee_div_zero 0
		.amdhsa_exception_fp_ieee_overflow 0
		.amdhsa_exception_fp_ieee_underflow 0
		.amdhsa_exception_fp_ieee_inexact 0
		.amdhsa_exception_int_div_zero 0
	.end_amdhsa_kernel
	.section	.text._Z6kernelI13subtract_leftLj256ELj32ELb0EJPiS1_jEEvDpT3_,"axG",@progbits,_Z6kernelI13subtract_leftLj256ELj32ELb0EJPiS1_jEEvDpT3_,comdat
.Lfunc_end5:
	.size	_Z6kernelI13subtract_leftLj256ELj32ELb0EJPiS1_jEEvDpT3_, .Lfunc_end5-_Z6kernelI13subtract_leftLj256ELj32ELb0EJPiS1_jEEvDpT3_
                                        ; -- End function
	.set _Z6kernelI13subtract_leftLj256ELj32ELb0EJPiS1_jEEvDpT3_.num_vgpr, 66
	.set _Z6kernelI13subtract_leftLj256ELj32ELb0EJPiS1_jEEvDpT3_.num_agpr, 0
	.set _Z6kernelI13subtract_leftLj256ELj32ELb0EJPiS1_jEEvDpT3_.numbered_sgpr, 8
	.set _Z6kernelI13subtract_leftLj256ELj32ELb0EJPiS1_jEEvDpT3_.num_named_barrier, 0
	.set _Z6kernelI13subtract_leftLj256ELj32ELb0EJPiS1_jEEvDpT3_.private_seg_size, 0
	.set _Z6kernelI13subtract_leftLj256ELj32ELb0EJPiS1_jEEvDpT3_.uses_vcc, 1
	.set _Z6kernelI13subtract_leftLj256ELj32ELb0EJPiS1_jEEvDpT3_.uses_flat_scratch, 0
	.set _Z6kernelI13subtract_leftLj256ELj32ELb0EJPiS1_jEEvDpT3_.has_dyn_sized_stack, 0
	.set _Z6kernelI13subtract_leftLj256ELj32ELb0EJPiS1_jEEvDpT3_.has_recursion, 0
	.set _Z6kernelI13subtract_leftLj256ELj32ELb0EJPiS1_jEEvDpT3_.has_indirect_call, 0
	.section	.AMDGPU.csdata,"",@progbits
; Kernel info:
; codeLenInByte = 1332
; TotalNumSgprs: 10
; NumVgprs: 66
; ScratchSize: 0
; MemoryBound: 0
; FloatMode: 240
; IeeeMode: 1
; LDSByteSize: 2048 bytes/workgroup (compile time only)
; SGPRBlocks: 0
; VGPRBlocks: 8
; NumSGPRsForWavesPerEU: 10
; NumVGPRsForWavesPerEU: 66
; Occupancy: 16
; WaveLimiterHint : 1
; COMPUTE_PGM_RSRC2:SCRATCH_EN: 0
; COMPUTE_PGM_RSRC2:USER_SGPR: 2
; COMPUTE_PGM_RSRC2:TRAP_HANDLER: 0
; COMPUTE_PGM_RSRC2:TGID_X_EN: 1
; COMPUTE_PGM_RSRC2:TGID_Y_EN: 0
; COMPUTE_PGM_RSRC2:TGID_Z_EN: 0
; COMPUTE_PGM_RSRC2:TIDIG_COMP_CNT: 0
	.section	.text._Z6kernelI13subtract_leftLj256ELj1ELb0EJPfS1_jEEvDpT3_,"axG",@progbits,_Z6kernelI13subtract_leftLj256ELj1ELb0EJPfS1_jEEvDpT3_,comdat
	.protected	_Z6kernelI13subtract_leftLj256ELj1ELb0EJPfS1_jEEvDpT3_ ; -- Begin function _Z6kernelI13subtract_leftLj256ELj1ELb0EJPfS1_jEEvDpT3_
	.globl	_Z6kernelI13subtract_leftLj256ELj1ELb0EJPfS1_jEEvDpT3_
	.p2align	8
	.type	_Z6kernelI13subtract_leftLj256ELj1ELb0EJPfS1_jEEvDpT3_,@function
_Z6kernelI13subtract_leftLj256ELj1ELb0EJPfS1_jEEvDpT3_: ; @_Z6kernelI13subtract_leftLj256ELj1ELb0EJPfS1_jEEvDpT3_
; %bb.0:
	s_load_b128 s[4:7], s[0:1], 0x0
	s_lshl_b32 s2, ttmp9, 8
	s_mov_b32 s3, 0
	v_lshlrev_b32_e32 v1, 2, v0
	s_lshl_b64 s[2:3], s[2:3], 2
	s_load_b32 s0, s[0:1], 0x10
	s_wait_kmcnt 0x0
	s_add_nc_u64 s[4:5], s[4:5], s[2:3]
	global_load_b32 v2, v1, s[4:5]
	s_cmp_eq_u32 s0, 0
	s_cbranch_scc1 .LBB6_5
; %bb.1:
	v_cmp_ne_u32_e32 vcc_lo, 0, v0
	v_add_nc_u32_e32 v0, -4, v1
	s_branch .LBB6_3
.LBB6_2:                                ;   in Loop: Header=BB6_3 Depth=1
	s_or_b32 exec_lo, exec_lo, s1
	s_delay_alu instid0(VALU_DEP_1)
	v_add_f32_e32 v2, v2, v3
	s_add_co_i32 s0, s0, -1
	s_wait_loadcnt 0x0
	s_cmp_lg_u32 s0, 0
	s_barrier_signal -1
	s_barrier_wait -1
	global_inv scope:SCOPE_SE
	s_cbranch_scc0 .LBB6_5
.LBB6_3:                                ; =>This Inner Loop Header: Depth=1
	s_wait_loadcnt 0x0
	v_mov_b32_e32 v3, v2
	ds_store_b32 v1, v2
	s_wait_dscnt 0x0
	s_barrier_signal -1
	s_barrier_wait -1
	global_inv scope:SCOPE_SE
	s_and_saveexec_b32 s1, vcc_lo
	s_cbranch_execz .LBB6_2
; %bb.4:                                ;   in Loop: Header=BB6_3 Depth=1
	ds_load_b32 v3, v0
	s_wait_dscnt 0x0
	v_sub_f32_e32 v3, v2, v3
	s_branch .LBB6_2
.LBB6_5:
	s_add_nc_u64 s[0:1], s[6:7], s[2:3]
	s_wait_loadcnt 0x0
	global_store_b32 v1, v2, s[0:1]
	s_endpgm
	.section	.rodata,"a",@progbits
	.p2align	6, 0x0
	.amdhsa_kernel _Z6kernelI13subtract_leftLj256ELj1ELb0EJPfS1_jEEvDpT3_
		.amdhsa_group_segment_fixed_size 2048
		.amdhsa_private_segment_fixed_size 0
		.amdhsa_kernarg_size 20
		.amdhsa_user_sgpr_count 2
		.amdhsa_user_sgpr_dispatch_ptr 0
		.amdhsa_user_sgpr_queue_ptr 0
		.amdhsa_user_sgpr_kernarg_segment_ptr 1
		.amdhsa_user_sgpr_dispatch_id 0
		.amdhsa_user_sgpr_private_segment_size 0
		.amdhsa_wavefront_size32 1
		.amdhsa_uses_dynamic_stack 0
		.amdhsa_enable_private_segment 0
		.amdhsa_system_sgpr_workgroup_id_x 1
		.amdhsa_system_sgpr_workgroup_id_y 0
		.amdhsa_system_sgpr_workgroup_id_z 0
		.amdhsa_system_sgpr_workgroup_info 0
		.amdhsa_system_vgpr_workitem_id 0
		.amdhsa_next_free_vgpr 4
		.amdhsa_next_free_sgpr 8
		.amdhsa_reserve_vcc 1
		.amdhsa_float_round_mode_32 0
		.amdhsa_float_round_mode_16_64 0
		.amdhsa_float_denorm_mode_32 3
		.amdhsa_float_denorm_mode_16_64 3
		.amdhsa_fp16_overflow 0
		.amdhsa_workgroup_processor_mode 1
		.amdhsa_memory_ordered 1
		.amdhsa_forward_progress 1
		.amdhsa_inst_pref_size 2
		.amdhsa_round_robin_scheduling 0
		.amdhsa_exception_fp_ieee_invalid_op 0
		.amdhsa_exception_fp_denorm_src 0
		.amdhsa_exception_fp_ieee_div_zero 0
		.amdhsa_exception_fp_ieee_overflow 0
		.amdhsa_exception_fp_ieee_underflow 0
		.amdhsa_exception_fp_ieee_inexact 0
		.amdhsa_exception_int_div_zero 0
	.end_amdhsa_kernel
	.section	.text._Z6kernelI13subtract_leftLj256ELj1ELb0EJPfS1_jEEvDpT3_,"axG",@progbits,_Z6kernelI13subtract_leftLj256ELj1ELb0EJPfS1_jEEvDpT3_,comdat
.Lfunc_end6:
	.size	_Z6kernelI13subtract_leftLj256ELj1ELb0EJPfS1_jEEvDpT3_, .Lfunc_end6-_Z6kernelI13subtract_leftLj256ELj1ELb0EJPfS1_jEEvDpT3_
                                        ; -- End function
	.set _Z6kernelI13subtract_leftLj256ELj1ELb0EJPfS1_jEEvDpT3_.num_vgpr, 4
	.set _Z6kernelI13subtract_leftLj256ELj1ELb0EJPfS1_jEEvDpT3_.num_agpr, 0
	.set _Z6kernelI13subtract_leftLj256ELj1ELb0EJPfS1_jEEvDpT3_.numbered_sgpr, 8
	.set _Z6kernelI13subtract_leftLj256ELj1ELb0EJPfS1_jEEvDpT3_.num_named_barrier, 0
	.set _Z6kernelI13subtract_leftLj256ELj1ELb0EJPfS1_jEEvDpT3_.private_seg_size, 0
	.set _Z6kernelI13subtract_leftLj256ELj1ELb0EJPfS1_jEEvDpT3_.uses_vcc, 1
	.set _Z6kernelI13subtract_leftLj256ELj1ELb0EJPfS1_jEEvDpT3_.uses_flat_scratch, 0
	.set _Z6kernelI13subtract_leftLj256ELj1ELb0EJPfS1_jEEvDpT3_.has_dyn_sized_stack, 0
	.set _Z6kernelI13subtract_leftLj256ELj1ELb0EJPfS1_jEEvDpT3_.has_recursion, 0
	.set _Z6kernelI13subtract_leftLj256ELj1ELb0EJPfS1_jEEvDpT3_.has_indirect_call, 0
	.section	.AMDGPU.csdata,"",@progbits
; Kernel info:
; codeLenInByte = 212
; TotalNumSgprs: 10
; NumVgprs: 4
; ScratchSize: 0
; MemoryBound: 0
; FloatMode: 240
; IeeeMode: 1
; LDSByteSize: 2048 bytes/workgroup (compile time only)
; SGPRBlocks: 0
; VGPRBlocks: 0
; NumSGPRsForWavesPerEU: 10
; NumVGPRsForWavesPerEU: 4
; Occupancy: 16
; WaveLimiterHint : 0
; COMPUTE_PGM_RSRC2:SCRATCH_EN: 0
; COMPUTE_PGM_RSRC2:USER_SGPR: 2
; COMPUTE_PGM_RSRC2:TRAP_HANDLER: 0
; COMPUTE_PGM_RSRC2:TGID_X_EN: 1
; COMPUTE_PGM_RSRC2:TGID_Y_EN: 0
; COMPUTE_PGM_RSRC2:TGID_Z_EN: 0
; COMPUTE_PGM_RSRC2:TIDIG_COMP_CNT: 0
	.section	.text._Z6kernelI13subtract_leftLj256ELj3ELb0EJPfS1_jEEvDpT3_,"axG",@progbits,_Z6kernelI13subtract_leftLj256ELj3ELb0EJPfS1_jEEvDpT3_,comdat
	.protected	_Z6kernelI13subtract_leftLj256ELj3ELb0EJPfS1_jEEvDpT3_ ; -- Begin function _Z6kernelI13subtract_leftLj256ELj3ELb0EJPfS1_jEEvDpT3_
	.globl	_Z6kernelI13subtract_leftLj256ELj3ELb0EJPfS1_jEEvDpT3_
	.p2align	8
	.type	_Z6kernelI13subtract_leftLj256ELj3ELb0EJPfS1_jEEvDpT3_,@function
_Z6kernelI13subtract_leftLj256ELj3ELb0EJPfS1_jEEvDpT3_: ; @_Z6kernelI13subtract_leftLj256ELj3ELb0EJPfS1_jEEvDpT3_
; %bb.0:
	s_load_b128 s[4:7], s[0:1], 0x0
	s_mul_i32 s2, ttmp9, 0x300
	s_mov_b32 s3, 0
	v_lshlrev_b32_e32 v1, 2, v0
	s_lshl_b64 s[2:3], s[2:3], 2
	s_load_b32 s0, s[0:1], 0x10
	s_wait_kmcnt 0x0
	s_add_nc_u64 s[4:5], s[4:5], s[2:3]
	s_clause 0x2
	global_load_b32 v4, v1, s[4:5]
	global_load_b32 v3, v1, s[4:5] offset:1024
	global_load_b32 v2, v1, s[4:5] offset:2048
	s_cmp_eq_u32 s0, 0
	s_cbranch_scc1 .LBB7_5
; %bb.1:
	v_cmp_ne_u32_e32 vcc_lo, 0, v0
	v_add_nc_u32_e32 v0, -4, v1
	s_branch .LBB7_3
.LBB7_2:                                ;   in Loop: Header=BB7_3 Depth=1
	s_or_b32 exec_lo, exec_lo, s1
	v_dual_sub_f32 v6, v3, v4 :: v_dual_sub_f32 v7, v2, v3
	s_delay_alu instid0(VALU_DEP_2) | instskip(SKIP_2) | instid1(VALU_DEP_2)
	v_add_f32_e32 v4, v4, v5
	s_add_co_i32 s0, s0, -1
	s_wait_loadcnt 0x0
	v_dual_add_f32 v3, v3, v6 :: v_dual_add_f32 v2, v2, v7
	s_cmp_lg_u32 s0, 0
	s_barrier_signal -1
	s_barrier_wait -1
	global_inv scope:SCOPE_SE
	s_cbranch_scc0 .LBB7_5
.LBB7_3:                                ; =>This Inner Loop Header: Depth=1
	s_wait_loadcnt 0x2
	v_mov_b32_e32 v5, v4
	s_wait_loadcnt 0x0
	ds_store_b32 v1, v2
	s_wait_dscnt 0x0
	s_barrier_signal -1
	s_barrier_wait -1
	global_inv scope:SCOPE_SE
	s_and_saveexec_b32 s1, vcc_lo
	s_cbranch_execz .LBB7_2
; %bb.4:                                ;   in Loop: Header=BB7_3 Depth=1
	ds_load_b32 v5, v0
	s_wait_dscnt 0x0
	v_sub_f32_e32 v5, v4, v5
	s_branch .LBB7_2
.LBB7_5:
	s_add_nc_u64 s[0:1], s[6:7], s[2:3]
	s_wait_loadcnt 0x2
	global_store_b32 v1, v4, s[0:1]
	s_wait_loadcnt 0x1
	global_store_b32 v1, v3, s[0:1] offset:1024
	s_wait_loadcnt 0x0
	global_store_b32 v1, v2, s[0:1] offset:2048
	s_endpgm
	.section	.rodata,"a",@progbits
	.p2align	6, 0x0
	.amdhsa_kernel _Z6kernelI13subtract_leftLj256ELj3ELb0EJPfS1_jEEvDpT3_
		.amdhsa_group_segment_fixed_size 2048
		.amdhsa_private_segment_fixed_size 0
		.amdhsa_kernarg_size 20
		.amdhsa_user_sgpr_count 2
		.amdhsa_user_sgpr_dispatch_ptr 0
		.amdhsa_user_sgpr_queue_ptr 0
		.amdhsa_user_sgpr_kernarg_segment_ptr 1
		.amdhsa_user_sgpr_dispatch_id 0
		.amdhsa_user_sgpr_private_segment_size 0
		.amdhsa_wavefront_size32 1
		.amdhsa_uses_dynamic_stack 0
		.amdhsa_enable_private_segment 0
		.amdhsa_system_sgpr_workgroup_id_x 1
		.amdhsa_system_sgpr_workgroup_id_y 0
		.amdhsa_system_sgpr_workgroup_id_z 0
		.amdhsa_system_sgpr_workgroup_info 0
		.amdhsa_system_vgpr_workitem_id 0
		.amdhsa_next_free_vgpr 8
		.amdhsa_next_free_sgpr 8
		.amdhsa_reserve_vcc 1
		.amdhsa_float_round_mode_32 0
		.amdhsa_float_round_mode_16_64 0
		.amdhsa_float_denorm_mode_32 3
		.amdhsa_float_denorm_mode_16_64 3
		.amdhsa_fp16_overflow 0
		.amdhsa_workgroup_processor_mode 1
		.amdhsa_memory_ordered 1
		.amdhsa_forward_progress 1
		.amdhsa_inst_pref_size 3
		.amdhsa_round_robin_scheduling 0
		.amdhsa_exception_fp_ieee_invalid_op 0
		.amdhsa_exception_fp_denorm_src 0
		.amdhsa_exception_fp_ieee_div_zero 0
		.amdhsa_exception_fp_ieee_overflow 0
		.amdhsa_exception_fp_ieee_underflow 0
		.amdhsa_exception_fp_ieee_inexact 0
		.amdhsa_exception_int_div_zero 0
	.end_amdhsa_kernel
	.section	.text._Z6kernelI13subtract_leftLj256ELj3ELb0EJPfS1_jEEvDpT3_,"axG",@progbits,_Z6kernelI13subtract_leftLj256ELj3ELb0EJPfS1_jEEvDpT3_,comdat
.Lfunc_end7:
	.size	_Z6kernelI13subtract_leftLj256ELj3ELb0EJPfS1_jEEvDpT3_, .Lfunc_end7-_Z6kernelI13subtract_leftLj256ELj3ELb0EJPfS1_jEEvDpT3_
                                        ; -- End function
	.set _Z6kernelI13subtract_leftLj256ELj3ELb0EJPfS1_jEEvDpT3_.num_vgpr, 8
	.set _Z6kernelI13subtract_leftLj256ELj3ELb0EJPfS1_jEEvDpT3_.num_agpr, 0
	.set _Z6kernelI13subtract_leftLj256ELj3ELb0EJPfS1_jEEvDpT3_.numbered_sgpr, 8
	.set _Z6kernelI13subtract_leftLj256ELj3ELb0EJPfS1_jEEvDpT3_.num_named_barrier, 0
	.set _Z6kernelI13subtract_leftLj256ELj3ELb0EJPfS1_jEEvDpT3_.private_seg_size, 0
	.set _Z6kernelI13subtract_leftLj256ELj3ELb0EJPfS1_jEEvDpT3_.uses_vcc, 1
	.set _Z6kernelI13subtract_leftLj256ELj3ELb0EJPfS1_jEEvDpT3_.uses_flat_scratch, 0
	.set _Z6kernelI13subtract_leftLj256ELj3ELb0EJPfS1_jEEvDpT3_.has_dyn_sized_stack, 0
	.set _Z6kernelI13subtract_leftLj256ELj3ELb0EJPfS1_jEEvDpT3_.has_recursion, 0
	.set _Z6kernelI13subtract_leftLj256ELj3ELb0EJPfS1_jEEvDpT3_.has_indirect_call, 0
	.section	.AMDGPU.csdata,"",@progbits
; Kernel info:
; codeLenInByte = 296
; TotalNumSgprs: 10
; NumVgprs: 8
; ScratchSize: 0
; MemoryBound: 0
; FloatMode: 240
; IeeeMode: 1
; LDSByteSize: 2048 bytes/workgroup (compile time only)
; SGPRBlocks: 0
; VGPRBlocks: 0
; NumSGPRsForWavesPerEU: 10
; NumVGPRsForWavesPerEU: 8
; Occupancy: 16
; WaveLimiterHint : 1
; COMPUTE_PGM_RSRC2:SCRATCH_EN: 0
; COMPUTE_PGM_RSRC2:USER_SGPR: 2
; COMPUTE_PGM_RSRC2:TRAP_HANDLER: 0
; COMPUTE_PGM_RSRC2:TGID_X_EN: 1
; COMPUTE_PGM_RSRC2:TGID_Y_EN: 0
; COMPUTE_PGM_RSRC2:TGID_Z_EN: 0
; COMPUTE_PGM_RSRC2:TIDIG_COMP_CNT: 0
	.section	.text._Z6kernelI13subtract_leftLj256ELj4ELb0EJPfS1_jEEvDpT3_,"axG",@progbits,_Z6kernelI13subtract_leftLj256ELj4ELb0EJPfS1_jEEvDpT3_,comdat
	.protected	_Z6kernelI13subtract_leftLj256ELj4ELb0EJPfS1_jEEvDpT3_ ; -- Begin function _Z6kernelI13subtract_leftLj256ELj4ELb0EJPfS1_jEEvDpT3_
	.globl	_Z6kernelI13subtract_leftLj256ELj4ELb0EJPfS1_jEEvDpT3_
	.p2align	8
	.type	_Z6kernelI13subtract_leftLj256ELj4ELb0EJPfS1_jEEvDpT3_,@function
_Z6kernelI13subtract_leftLj256ELj4ELb0EJPfS1_jEEvDpT3_: ; @_Z6kernelI13subtract_leftLj256ELj4ELb0EJPfS1_jEEvDpT3_
; %bb.0:
	s_load_b128 s[4:7], s[0:1], 0x0
	s_lshl_b32 s2, ttmp9, 10
	s_mov_b32 s3, 0
	v_lshlrev_b32_e32 v1, 2, v0
	s_lshl_b64 s[2:3], s[2:3], 2
	s_load_b32 s0, s[0:1], 0x10
	s_wait_kmcnt 0x0
	s_add_nc_u64 s[4:5], s[4:5], s[2:3]
	s_clause 0x3
	global_load_b32 v5, v1, s[4:5]
	global_load_b32 v4, v1, s[4:5] offset:1024
	global_load_b32 v3, v1, s[4:5] offset:2048
	;; [unrolled: 1-line block ×3, first 2 shown]
	s_cmp_eq_u32 s0, 0
	s_cbranch_scc1 .LBB8_5
; %bb.1:
	v_cmp_ne_u32_e32 vcc_lo, 0, v0
	v_add_nc_u32_e32 v0, -4, v1
	s_branch .LBB8_3
.LBB8_2:                                ;   in Loop: Header=BB8_3 Depth=1
	s_or_b32 exec_lo, exec_lo, s1
	v_dual_sub_f32 v7, v4, v5 :: v_dual_sub_f32 v8, v3, v4
	v_sub_f32_e32 v9, v2, v3
	v_add_f32_e32 v5, v5, v6
	s_add_co_i32 s0, s0, -1
	s_delay_alu instid0(VALU_DEP_3) | instskip(NEXT) | instid1(VALU_DEP_3)
	v_dual_add_f32 v4, v4, v7 :: v_dual_add_f32 v3, v3, v8
	v_add_f32_e32 v2, v2, v9
	s_cmp_lg_u32 s0, 0
	s_wait_loadcnt 0x0
	s_barrier_signal -1
	s_barrier_wait -1
	global_inv scope:SCOPE_SE
	s_cbranch_scc0 .LBB8_5
.LBB8_3:                                ; =>This Inner Loop Header: Depth=1
	s_wait_loadcnt 0x3
	v_mov_b32_e32 v6, v5
	s_wait_loadcnt 0x0
	ds_store_b32 v1, v2
	s_wait_dscnt 0x0
	s_barrier_signal -1
	s_barrier_wait -1
	global_inv scope:SCOPE_SE
	s_and_saveexec_b32 s1, vcc_lo
	s_cbranch_execz .LBB8_2
; %bb.4:                                ;   in Loop: Header=BB8_3 Depth=1
	ds_load_b32 v6, v0
	s_wait_dscnt 0x0
	v_sub_f32_e32 v6, v5, v6
	s_branch .LBB8_2
.LBB8_5:
	s_add_nc_u64 s[0:1], s[6:7], s[2:3]
	s_wait_loadcnt 0x3
	global_store_b32 v1, v5, s[0:1]
	s_wait_loadcnt 0x2
	global_store_b32 v1, v4, s[0:1] offset:1024
	s_wait_loadcnt 0x1
	global_store_b32 v1, v3, s[0:1] offset:2048
	;; [unrolled: 2-line block ×3, first 2 shown]
	s_endpgm
	.section	.rodata,"a",@progbits
	.p2align	6, 0x0
	.amdhsa_kernel _Z6kernelI13subtract_leftLj256ELj4ELb0EJPfS1_jEEvDpT3_
		.amdhsa_group_segment_fixed_size 2048
		.amdhsa_private_segment_fixed_size 0
		.amdhsa_kernarg_size 20
		.amdhsa_user_sgpr_count 2
		.amdhsa_user_sgpr_dispatch_ptr 0
		.amdhsa_user_sgpr_queue_ptr 0
		.amdhsa_user_sgpr_kernarg_segment_ptr 1
		.amdhsa_user_sgpr_dispatch_id 0
		.amdhsa_user_sgpr_private_segment_size 0
		.amdhsa_wavefront_size32 1
		.amdhsa_uses_dynamic_stack 0
		.amdhsa_enable_private_segment 0
		.amdhsa_system_sgpr_workgroup_id_x 1
		.amdhsa_system_sgpr_workgroup_id_y 0
		.amdhsa_system_sgpr_workgroup_id_z 0
		.amdhsa_system_sgpr_workgroup_info 0
		.amdhsa_system_vgpr_workitem_id 0
		.amdhsa_next_free_vgpr 10
		.amdhsa_next_free_sgpr 8
		.amdhsa_reserve_vcc 1
		.amdhsa_float_round_mode_32 0
		.amdhsa_float_round_mode_16_64 0
		.amdhsa_float_denorm_mode_32 3
		.amdhsa_float_denorm_mode_16_64 3
		.amdhsa_fp16_overflow 0
		.amdhsa_workgroup_processor_mode 1
		.amdhsa_memory_ordered 1
		.amdhsa_forward_progress 1
		.amdhsa_inst_pref_size 3
		.amdhsa_round_robin_scheduling 0
		.amdhsa_exception_fp_ieee_invalid_op 0
		.amdhsa_exception_fp_denorm_src 0
		.amdhsa_exception_fp_ieee_div_zero 0
		.amdhsa_exception_fp_ieee_overflow 0
		.amdhsa_exception_fp_ieee_underflow 0
		.amdhsa_exception_fp_ieee_inexact 0
		.amdhsa_exception_int_div_zero 0
	.end_amdhsa_kernel
	.section	.text._Z6kernelI13subtract_leftLj256ELj4ELb0EJPfS1_jEEvDpT3_,"axG",@progbits,_Z6kernelI13subtract_leftLj256ELj4ELb0EJPfS1_jEEvDpT3_,comdat
.Lfunc_end8:
	.size	_Z6kernelI13subtract_leftLj256ELj4ELb0EJPfS1_jEEvDpT3_, .Lfunc_end8-_Z6kernelI13subtract_leftLj256ELj4ELb0EJPfS1_jEEvDpT3_
                                        ; -- End function
	.set _Z6kernelI13subtract_leftLj256ELj4ELb0EJPfS1_jEEvDpT3_.num_vgpr, 10
	.set _Z6kernelI13subtract_leftLj256ELj4ELb0EJPfS1_jEEvDpT3_.num_agpr, 0
	.set _Z6kernelI13subtract_leftLj256ELj4ELb0EJPfS1_jEEvDpT3_.numbered_sgpr, 8
	.set _Z6kernelI13subtract_leftLj256ELj4ELb0EJPfS1_jEEvDpT3_.num_named_barrier, 0
	.set _Z6kernelI13subtract_leftLj256ELj4ELb0EJPfS1_jEEvDpT3_.private_seg_size, 0
	.set _Z6kernelI13subtract_leftLj256ELj4ELb0EJPfS1_jEEvDpT3_.uses_vcc, 1
	.set _Z6kernelI13subtract_leftLj256ELj4ELb0EJPfS1_jEEvDpT3_.uses_flat_scratch, 0
	.set _Z6kernelI13subtract_leftLj256ELj4ELb0EJPfS1_jEEvDpT3_.has_dyn_sized_stack, 0
	.set _Z6kernelI13subtract_leftLj256ELj4ELb0EJPfS1_jEEvDpT3_.has_recursion, 0
	.set _Z6kernelI13subtract_leftLj256ELj4ELb0EJPfS1_jEEvDpT3_.has_indirect_call, 0
	.section	.AMDGPU.csdata,"",@progbits
; Kernel info:
; codeLenInByte = 328
; TotalNumSgprs: 10
; NumVgprs: 10
; ScratchSize: 0
; MemoryBound: 0
; FloatMode: 240
; IeeeMode: 1
; LDSByteSize: 2048 bytes/workgroup (compile time only)
; SGPRBlocks: 0
; VGPRBlocks: 1
; NumSGPRsForWavesPerEU: 10
; NumVGPRsForWavesPerEU: 10
; Occupancy: 16
; WaveLimiterHint : 1
; COMPUTE_PGM_RSRC2:SCRATCH_EN: 0
; COMPUTE_PGM_RSRC2:USER_SGPR: 2
; COMPUTE_PGM_RSRC2:TRAP_HANDLER: 0
; COMPUTE_PGM_RSRC2:TGID_X_EN: 1
; COMPUTE_PGM_RSRC2:TGID_Y_EN: 0
; COMPUTE_PGM_RSRC2:TGID_Z_EN: 0
; COMPUTE_PGM_RSRC2:TIDIG_COMP_CNT: 0
	.section	.text._Z6kernelI13subtract_leftLj256ELj8ELb0EJPfS1_jEEvDpT3_,"axG",@progbits,_Z6kernelI13subtract_leftLj256ELj8ELb0EJPfS1_jEEvDpT3_,comdat
	.protected	_Z6kernelI13subtract_leftLj256ELj8ELb0EJPfS1_jEEvDpT3_ ; -- Begin function _Z6kernelI13subtract_leftLj256ELj8ELb0EJPfS1_jEEvDpT3_
	.globl	_Z6kernelI13subtract_leftLj256ELj8ELb0EJPfS1_jEEvDpT3_
	.p2align	8
	.type	_Z6kernelI13subtract_leftLj256ELj8ELb0EJPfS1_jEEvDpT3_,@function
_Z6kernelI13subtract_leftLj256ELj8ELb0EJPfS1_jEEvDpT3_: ; @_Z6kernelI13subtract_leftLj256ELj8ELb0EJPfS1_jEEvDpT3_
; %bb.0:
	s_load_b128 s[4:7], s[0:1], 0x0
	s_lshl_b32 s2, ttmp9, 11
	s_mov_b32 s3, 0
	v_lshlrev_b32_e32 v1, 2, v0
	s_lshl_b64 s[2:3], s[2:3], 2
	s_load_b32 s0, s[0:1], 0x10
	s_wait_kmcnt 0x0
	s_add_nc_u64 s[4:5], s[4:5], s[2:3]
	s_clause 0x7
	global_load_b32 v9, v1, s[4:5]
	global_load_b32 v8, v1, s[4:5] offset:1024
	global_load_b32 v7, v1, s[4:5] offset:2048
	;; [unrolled: 1-line block ×7, first 2 shown]
	s_cmp_eq_u32 s0, 0
	s_cbranch_scc1 .LBB9_5
; %bb.1:
	v_cmp_ne_u32_e32 vcc_lo, 0, v0
	v_add_nc_u32_e32 v0, -4, v1
	s_branch .LBB9_3
.LBB9_2:                                ;   in Loop: Header=BB9_3 Depth=1
	s_or_b32 exec_lo, exec_lo, s1
	v_dual_sub_f32 v11, v2, v3 :: v_dual_sub_f32 v12, v3, v4
	v_dual_sub_f32 v13, v4, v5 :: v_dual_sub_f32 v16, v6, v7
	;; [unrolled: 1-line block ×3, first 2 shown]
	v_sub_f32_e32 v17, v5, v6
	s_delay_alu instid0(VALU_DEP_3) | instskip(NEXT) | instid1(VALU_DEP_3)
	v_dual_add_f32 v9, v9, v10 :: v_dual_add_f32 v4, v4, v13
	v_dual_add_f32 v8, v8, v14 :: v_dual_add_f32 v7, v7, v15
	s_delay_alu instid0(VALU_DEP_3)
	v_dual_add_f32 v6, v6, v16 :: v_dual_add_f32 v5, v5, v17
	v_dual_add_f32 v2, v2, v11 :: v_dual_add_f32 v3, v3, v12
	s_add_co_i32 s0, s0, -1
	s_wait_loadcnt 0x0
	s_cmp_lg_u32 s0, 0
	s_barrier_signal -1
	s_barrier_wait -1
	global_inv scope:SCOPE_SE
	s_cbranch_scc0 .LBB9_5
.LBB9_3:                                ; =>This Inner Loop Header: Depth=1
	s_wait_loadcnt 0x7
	v_mov_b32_e32 v10, v9
	s_wait_loadcnt 0x0
	ds_store_b32 v1, v2
	s_wait_dscnt 0x0
	s_barrier_signal -1
	s_barrier_wait -1
	global_inv scope:SCOPE_SE
	s_and_saveexec_b32 s1, vcc_lo
	s_cbranch_execz .LBB9_2
; %bb.4:                                ;   in Loop: Header=BB9_3 Depth=1
	ds_load_b32 v10, v0
	s_wait_dscnt 0x0
	v_sub_f32_e32 v10, v9, v10
	s_branch .LBB9_2
.LBB9_5:
	s_add_nc_u64 s[0:1], s[6:7], s[2:3]
	s_wait_loadcnt 0x7
	global_store_b32 v1, v9, s[0:1]
	s_wait_loadcnt 0x6
	global_store_b32 v1, v8, s[0:1] offset:1024
	s_wait_loadcnt 0x5
	global_store_b32 v1, v7, s[0:1] offset:2048
	;; [unrolled: 2-line block ×7, first 2 shown]
	s_endpgm
	.section	.rodata,"a",@progbits
	.p2align	6, 0x0
	.amdhsa_kernel _Z6kernelI13subtract_leftLj256ELj8ELb0EJPfS1_jEEvDpT3_
		.amdhsa_group_segment_fixed_size 2048
		.amdhsa_private_segment_fixed_size 0
		.amdhsa_kernarg_size 20
		.amdhsa_user_sgpr_count 2
		.amdhsa_user_sgpr_dispatch_ptr 0
		.amdhsa_user_sgpr_queue_ptr 0
		.amdhsa_user_sgpr_kernarg_segment_ptr 1
		.amdhsa_user_sgpr_dispatch_id 0
		.amdhsa_user_sgpr_private_segment_size 0
		.amdhsa_wavefront_size32 1
		.amdhsa_uses_dynamic_stack 0
		.amdhsa_enable_private_segment 0
		.amdhsa_system_sgpr_workgroup_id_x 1
		.amdhsa_system_sgpr_workgroup_id_y 0
		.amdhsa_system_sgpr_workgroup_id_z 0
		.amdhsa_system_sgpr_workgroup_info 0
		.amdhsa_system_vgpr_workitem_id 0
		.amdhsa_next_free_vgpr 18
		.amdhsa_next_free_sgpr 8
		.amdhsa_reserve_vcc 1
		.amdhsa_float_round_mode_32 0
		.amdhsa_float_round_mode_16_64 0
		.amdhsa_float_denorm_mode_32 3
		.amdhsa_float_denorm_mode_16_64 3
		.amdhsa_fp16_overflow 0
		.amdhsa_workgroup_processor_mode 1
		.amdhsa_memory_ordered 1
		.amdhsa_forward_progress 1
		.amdhsa_inst_pref_size 4
		.amdhsa_round_robin_scheduling 0
		.amdhsa_exception_fp_ieee_invalid_op 0
		.amdhsa_exception_fp_denorm_src 0
		.amdhsa_exception_fp_ieee_div_zero 0
		.amdhsa_exception_fp_ieee_overflow 0
		.amdhsa_exception_fp_ieee_underflow 0
		.amdhsa_exception_fp_ieee_inexact 0
		.amdhsa_exception_int_div_zero 0
	.end_amdhsa_kernel
	.section	.text._Z6kernelI13subtract_leftLj256ELj8ELb0EJPfS1_jEEvDpT3_,"axG",@progbits,_Z6kernelI13subtract_leftLj256ELj8ELb0EJPfS1_jEEvDpT3_,comdat
.Lfunc_end9:
	.size	_Z6kernelI13subtract_leftLj256ELj8ELb0EJPfS1_jEEvDpT3_, .Lfunc_end9-_Z6kernelI13subtract_leftLj256ELj8ELb0EJPfS1_jEEvDpT3_
                                        ; -- End function
	.set _Z6kernelI13subtract_leftLj256ELj8ELb0EJPfS1_jEEvDpT3_.num_vgpr, 18
	.set _Z6kernelI13subtract_leftLj256ELj8ELb0EJPfS1_jEEvDpT3_.num_agpr, 0
	.set _Z6kernelI13subtract_leftLj256ELj8ELb0EJPfS1_jEEvDpT3_.numbered_sgpr, 8
	.set _Z6kernelI13subtract_leftLj256ELj8ELb0EJPfS1_jEEvDpT3_.num_named_barrier, 0
	.set _Z6kernelI13subtract_leftLj256ELj8ELb0EJPfS1_jEEvDpT3_.private_seg_size, 0
	.set _Z6kernelI13subtract_leftLj256ELj8ELb0EJPfS1_jEEvDpT3_.uses_vcc, 1
	.set _Z6kernelI13subtract_leftLj256ELj8ELb0EJPfS1_jEEvDpT3_.uses_flat_scratch, 0
	.set _Z6kernelI13subtract_leftLj256ELj8ELb0EJPfS1_jEEvDpT3_.has_dyn_sized_stack, 0
	.set _Z6kernelI13subtract_leftLj256ELj8ELb0EJPfS1_jEEvDpT3_.has_recursion, 0
	.set _Z6kernelI13subtract_leftLj256ELj8ELb0EJPfS1_jEEvDpT3_.has_indirect_call, 0
	.section	.AMDGPU.csdata,"",@progbits
; Kernel info:
; codeLenInByte = 476
; TotalNumSgprs: 10
; NumVgprs: 18
; ScratchSize: 0
; MemoryBound: 0
; FloatMode: 240
; IeeeMode: 1
; LDSByteSize: 2048 bytes/workgroup (compile time only)
; SGPRBlocks: 0
; VGPRBlocks: 2
; NumSGPRsForWavesPerEU: 10
; NumVGPRsForWavesPerEU: 18
; Occupancy: 16
; WaveLimiterHint : 1
; COMPUTE_PGM_RSRC2:SCRATCH_EN: 0
; COMPUTE_PGM_RSRC2:USER_SGPR: 2
; COMPUTE_PGM_RSRC2:TRAP_HANDLER: 0
; COMPUTE_PGM_RSRC2:TGID_X_EN: 1
; COMPUTE_PGM_RSRC2:TGID_Y_EN: 0
; COMPUTE_PGM_RSRC2:TGID_Z_EN: 0
; COMPUTE_PGM_RSRC2:TIDIG_COMP_CNT: 0
	.section	.text._Z6kernelI13subtract_leftLj256ELj16ELb0EJPfS1_jEEvDpT3_,"axG",@progbits,_Z6kernelI13subtract_leftLj256ELj16ELb0EJPfS1_jEEvDpT3_,comdat
	.protected	_Z6kernelI13subtract_leftLj256ELj16ELb0EJPfS1_jEEvDpT3_ ; -- Begin function _Z6kernelI13subtract_leftLj256ELj16ELb0EJPfS1_jEEvDpT3_
	.globl	_Z6kernelI13subtract_leftLj256ELj16ELb0EJPfS1_jEEvDpT3_
	.p2align	8
	.type	_Z6kernelI13subtract_leftLj256ELj16ELb0EJPfS1_jEEvDpT3_,@function
_Z6kernelI13subtract_leftLj256ELj16ELb0EJPfS1_jEEvDpT3_: ; @_Z6kernelI13subtract_leftLj256ELj16ELb0EJPfS1_jEEvDpT3_
; %bb.0:
	s_load_b128 s[4:7], s[0:1], 0x0
	s_lshl_b32 s2, ttmp9, 12
	s_mov_b32 s3, 0
	v_lshlrev_b32_e32 v1, 2, v0
	s_lshl_b64 s[2:3], s[2:3], 2
	s_load_b32 s0, s[0:1], 0x10
	s_wait_kmcnt 0x0
	s_add_nc_u64 s[4:5], s[4:5], s[2:3]
	s_clause 0xf
	global_load_b32 v17, v1, s[4:5]
	global_load_b32 v16, v1, s[4:5] offset:1024
	global_load_b32 v15, v1, s[4:5] offset:2048
	;; [unrolled: 1-line block ×15, first 2 shown]
	s_cmp_eq_u32 s0, 0
	s_cbranch_scc1 .LBB10_5
; %bb.1:
	v_cmp_ne_u32_e32 vcc_lo, 0, v0
	v_add_nc_u32_e32 v0, -4, v1
	s_branch .LBB10_3
.LBB10_2:                               ;   in Loop: Header=BB10_3 Depth=1
	s_or_b32 exec_lo, exec_lo, s1
	v_dual_sub_f32 v19, v2, v3 :: v_dual_sub_f32 v20, v3, v4
	v_dual_sub_f32 v21, v4, v5 :: v_dual_sub_f32 v22, v5, v6
	;; [unrolled: 1-line block ×7, first 2 shown]
	v_sub_f32_e32 v33, v13, v14
	s_delay_alu instid0(VALU_DEP_3) | instskip(NEXT) | instid1(VALU_DEP_3)
	v_dual_add_f32 v17, v17, v18 :: v_dual_add_f32 v12, v12, v29
	v_dual_add_f32 v16, v16, v30 :: v_dual_add_f32 v15, v15, v31
	s_delay_alu instid0(VALU_DEP_3)
	v_dual_add_f32 v14, v14, v32 :: v_dual_add_f32 v13, v13, v33
	v_dual_add_f32 v10, v10, v27 :: v_dual_add_f32 v11, v11, v28
	v_dual_add_f32 v8, v8, v25 :: v_dual_add_f32 v9, v9, v26
	v_dual_add_f32 v6, v6, v23 :: v_dual_add_f32 v7, v7, v24
	v_dual_add_f32 v4, v4, v21 :: v_dual_add_f32 v5, v5, v22
	v_dual_add_f32 v2, v2, v19 :: v_dual_add_f32 v3, v3, v20
	s_add_co_i32 s0, s0, -1
	s_wait_loadcnt 0x0
	s_cmp_lg_u32 s0, 0
	s_barrier_signal -1
	s_barrier_wait -1
	global_inv scope:SCOPE_SE
	s_cbranch_scc0 .LBB10_5
.LBB10_3:                               ; =>This Inner Loop Header: Depth=1
	s_wait_loadcnt 0xf
	v_mov_b32_e32 v18, v17
	s_wait_loadcnt 0x0
	ds_store_b32 v1, v2
	s_wait_dscnt 0x0
	s_barrier_signal -1
	s_barrier_wait -1
	global_inv scope:SCOPE_SE
	s_and_saveexec_b32 s1, vcc_lo
	s_cbranch_execz .LBB10_2
; %bb.4:                                ;   in Loop: Header=BB10_3 Depth=1
	ds_load_b32 v18, v0
	s_wait_dscnt 0x0
	v_sub_f32_e32 v18, v17, v18
	s_branch .LBB10_2
.LBB10_5:
	s_add_nc_u64 s[0:1], s[6:7], s[2:3]
	s_wait_loadcnt 0xf
	global_store_b32 v1, v17, s[0:1]
	s_wait_loadcnt 0xe
	global_store_b32 v1, v16, s[0:1] offset:1024
	s_wait_loadcnt 0xd
	global_store_b32 v1, v15, s[0:1] offset:2048
	;; [unrolled: 2-line block ×15, first 2 shown]
	s_endpgm
	.section	.rodata,"a",@progbits
	.p2align	6, 0x0
	.amdhsa_kernel _Z6kernelI13subtract_leftLj256ELj16ELb0EJPfS1_jEEvDpT3_
		.amdhsa_group_segment_fixed_size 2048
		.amdhsa_private_segment_fixed_size 0
		.amdhsa_kernarg_size 20
		.amdhsa_user_sgpr_count 2
		.amdhsa_user_sgpr_dispatch_ptr 0
		.amdhsa_user_sgpr_queue_ptr 0
		.amdhsa_user_sgpr_kernarg_segment_ptr 1
		.amdhsa_user_sgpr_dispatch_id 0
		.amdhsa_user_sgpr_private_segment_size 0
		.amdhsa_wavefront_size32 1
		.amdhsa_uses_dynamic_stack 0
		.amdhsa_enable_private_segment 0
		.amdhsa_system_sgpr_workgroup_id_x 1
		.amdhsa_system_sgpr_workgroup_id_y 0
		.amdhsa_system_sgpr_workgroup_id_z 0
		.amdhsa_system_sgpr_workgroup_info 0
		.amdhsa_system_vgpr_workitem_id 0
		.amdhsa_next_free_vgpr 34
		.amdhsa_next_free_sgpr 8
		.amdhsa_reserve_vcc 1
		.amdhsa_float_round_mode_32 0
		.amdhsa_float_round_mode_16_64 0
		.amdhsa_float_denorm_mode_32 3
		.amdhsa_float_denorm_mode_16_64 3
		.amdhsa_fp16_overflow 0
		.amdhsa_workgroup_processor_mode 1
		.amdhsa_memory_ordered 1
		.amdhsa_forward_progress 1
		.amdhsa_inst_pref_size 6
		.amdhsa_round_robin_scheduling 0
		.amdhsa_exception_fp_ieee_invalid_op 0
		.amdhsa_exception_fp_denorm_src 0
		.amdhsa_exception_fp_ieee_div_zero 0
		.amdhsa_exception_fp_ieee_overflow 0
		.amdhsa_exception_fp_ieee_underflow 0
		.amdhsa_exception_fp_ieee_inexact 0
		.amdhsa_exception_int_div_zero 0
	.end_amdhsa_kernel
	.section	.text._Z6kernelI13subtract_leftLj256ELj16ELb0EJPfS1_jEEvDpT3_,"axG",@progbits,_Z6kernelI13subtract_leftLj256ELj16ELb0EJPfS1_jEEvDpT3_,comdat
.Lfunc_end10:
	.size	_Z6kernelI13subtract_leftLj256ELj16ELb0EJPfS1_jEEvDpT3_, .Lfunc_end10-_Z6kernelI13subtract_leftLj256ELj16ELb0EJPfS1_jEEvDpT3_
                                        ; -- End function
	.set _Z6kernelI13subtract_leftLj256ELj16ELb0EJPfS1_jEEvDpT3_.num_vgpr, 34
	.set _Z6kernelI13subtract_leftLj256ELj16ELb0EJPfS1_jEEvDpT3_.num_agpr, 0
	.set _Z6kernelI13subtract_leftLj256ELj16ELb0EJPfS1_jEEvDpT3_.numbered_sgpr, 8
	.set _Z6kernelI13subtract_leftLj256ELj16ELb0EJPfS1_jEEvDpT3_.num_named_barrier, 0
	.set _Z6kernelI13subtract_leftLj256ELj16ELb0EJPfS1_jEEvDpT3_.private_seg_size, 0
	.set _Z6kernelI13subtract_leftLj256ELj16ELb0EJPfS1_jEEvDpT3_.uses_vcc, 1
	.set _Z6kernelI13subtract_leftLj256ELj16ELb0EJPfS1_jEEvDpT3_.uses_flat_scratch, 0
	.set _Z6kernelI13subtract_leftLj256ELj16ELb0EJPfS1_jEEvDpT3_.has_dyn_sized_stack, 0
	.set _Z6kernelI13subtract_leftLj256ELj16ELb0EJPfS1_jEEvDpT3_.has_recursion, 0
	.set _Z6kernelI13subtract_leftLj256ELj16ELb0EJPfS1_jEEvDpT3_.has_indirect_call, 0
	.section	.AMDGPU.csdata,"",@progbits
; Kernel info:
; codeLenInByte = 764
; TotalNumSgprs: 10
; NumVgprs: 34
; ScratchSize: 0
; MemoryBound: 0
; FloatMode: 240
; IeeeMode: 1
; LDSByteSize: 2048 bytes/workgroup (compile time only)
; SGPRBlocks: 0
; VGPRBlocks: 4
; NumSGPRsForWavesPerEU: 10
; NumVGPRsForWavesPerEU: 34
; Occupancy: 16
; WaveLimiterHint : 1
; COMPUTE_PGM_RSRC2:SCRATCH_EN: 0
; COMPUTE_PGM_RSRC2:USER_SGPR: 2
; COMPUTE_PGM_RSRC2:TRAP_HANDLER: 0
; COMPUTE_PGM_RSRC2:TGID_X_EN: 1
; COMPUTE_PGM_RSRC2:TGID_Y_EN: 0
; COMPUTE_PGM_RSRC2:TGID_Z_EN: 0
; COMPUTE_PGM_RSRC2:TIDIG_COMP_CNT: 0
	.section	.text._Z6kernelI13subtract_leftLj256ELj32ELb0EJPfS1_jEEvDpT3_,"axG",@progbits,_Z6kernelI13subtract_leftLj256ELj32ELb0EJPfS1_jEEvDpT3_,comdat
	.protected	_Z6kernelI13subtract_leftLj256ELj32ELb0EJPfS1_jEEvDpT3_ ; -- Begin function _Z6kernelI13subtract_leftLj256ELj32ELb0EJPfS1_jEEvDpT3_
	.globl	_Z6kernelI13subtract_leftLj256ELj32ELb0EJPfS1_jEEvDpT3_
	.p2align	8
	.type	_Z6kernelI13subtract_leftLj256ELj32ELb0EJPfS1_jEEvDpT3_,@function
_Z6kernelI13subtract_leftLj256ELj32ELb0EJPfS1_jEEvDpT3_: ; @_Z6kernelI13subtract_leftLj256ELj32ELb0EJPfS1_jEEvDpT3_
; %bb.0:
	s_load_b128 s[4:7], s[0:1], 0x0
	s_lshl_b32 s2, ttmp9, 13
	s_mov_b32 s3, 0
	v_lshlrev_b32_e32 v1, 2, v0
	s_lshl_b64 s[2:3], s[2:3], 2
	s_load_b32 s0, s[0:1], 0x10
	s_wait_kmcnt 0x0
	s_add_nc_u64 s[4:5], s[4:5], s[2:3]
	s_clause 0x1f
	global_load_b32 v33, v1, s[4:5]
	global_load_b32 v32, v1, s[4:5] offset:1024
	global_load_b32 v31, v1, s[4:5] offset:2048
	;; [unrolled: 1-line block ×31, first 2 shown]
	s_cmp_eq_u32 s0, 0
	s_cbranch_scc1 .LBB11_5
; %bb.1:
	v_cmp_ne_u32_e32 vcc_lo, 0, v0
	v_add_nc_u32_e32 v0, -4, v1
	s_branch .LBB11_3
.LBB11_2:                               ;   in Loop: Header=BB11_3 Depth=1
	s_or_b32 exec_lo, exec_lo, s1
	v_dual_sub_f32 v35, v2, v3 :: v_dual_sub_f32 v36, v3, v4
	v_dual_sub_f32 v37, v4, v5 :: v_dual_sub_f32 v38, v5, v6
	;; [unrolled: 1-line block ×15, first 2 shown]
	v_sub_f32_e32 v65, v29, v30
	s_delay_alu instid0(VALU_DEP_3) | instskip(NEXT) | instid1(VALU_DEP_3)
	v_dual_add_f32 v33, v33, v34 :: v_dual_add_f32 v28, v28, v61
	v_dual_add_f32 v32, v32, v62 :: v_dual_add_f32 v31, v31, v63
	s_delay_alu instid0(VALU_DEP_3)
	v_dual_add_f32 v30, v30, v64 :: v_dual_add_f32 v29, v29, v65
	v_dual_add_f32 v26, v26, v59 :: v_dual_add_f32 v27, v27, v60
	;; [unrolled: 1-line block ×14, first 2 shown]
	s_add_co_i32 s0, s0, -1
	s_wait_loadcnt 0x0
	s_cmp_lg_u32 s0, 0
	s_barrier_signal -1
	s_barrier_wait -1
	global_inv scope:SCOPE_SE
	s_cbranch_scc0 .LBB11_5
.LBB11_3:                               ; =>This Inner Loop Header: Depth=1
	s_wait_loadcnt 0x1f
	v_mov_b32_e32 v34, v33
	s_wait_loadcnt 0x0
	ds_store_b32 v1, v2
	s_wait_dscnt 0x0
	s_barrier_signal -1
	s_barrier_wait -1
	global_inv scope:SCOPE_SE
	s_and_saveexec_b32 s1, vcc_lo
	s_cbranch_execz .LBB11_2
; %bb.4:                                ;   in Loop: Header=BB11_3 Depth=1
	ds_load_b32 v34, v0
	s_wait_dscnt 0x0
	v_sub_f32_e32 v34, v33, v34
	s_branch .LBB11_2
.LBB11_5:
	s_add_nc_u64 s[0:1], s[6:7], s[2:3]
	s_wait_loadcnt 0x1f
	global_store_b32 v1, v33, s[0:1]
	s_wait_loadcnt 0x1e
	global_store_b32 v1, v32, s[0:1] offset:1024
	s_wait_loadcnt 0x1d
	global_store_b32 v1, v31, s[0:1] offset:2048
	;; [unrolled: 2-line block ×31, first 2 shown]
	s_endpgm
	.section	.rodata,"a",@progbits
	.p2align	6, 0x0
	.amdhsa_kernel _Z6kernelI13subtract_leftLj256ELj32ELb0EJPfS1_jEEvDpT3_
		.amdhsa_group_segment_fixed_size 2048
		.amdhsa_private_segment_fixed_size 0
		.amdhsa_kernarg_size 20
		.amdhsa_user_sgpr_count 2
		.amdhsa_user_sgpr_dispatch_ptr 0
		.amdhsa_user_sgpr_queue_ptr 0
		.amdhsa_user_sgpr_kernarg_segment_ptr 1
		.amdhsa_user_sgpr_dispatch_id 0
		.amdhsa_user_sgpr_private_segment_size 0
		.amdhsa_wavefront_size32 1
		.amdhsa_uses_dynamic_stack 0
		.amdhsa_enable_private_segment 0
		.amdhsa_system_sgpr_workgroup_id_x 1
		.amdhsa_system_sgpr_workgroup_id_y 0
		.amdhsa_system_sgpr_workgroup_id_z 0
		.amdhsa_system_sgpr_workgroup_info 0
		.amdhsa_system_vgpr_workitem_id 0
		.amdhsa_next_free_vgpr 66
		.amdhsa_next_free_sgpr 8
		.amdhsa_reserve_vcc 1
		.amdhsa_float_round_mode_32 0
		.amdhsa_float_round_mode_16_64 0
		.amdhsa_float_denorm_mode_32 3
		.amdhsa_float_denorm_mode_16_64 3
		.amdhsa_fp16_overflow 0
		.amdhsa_workgroup_processor_mode 1
		.amdhsa_memory_ordered 1
		.amdhsa_forward_progress 1
		.amdhsa_inst_pref_size 11
		.amdhsa_round_robin_scheduling 0
		.amdhsa_exception_fp_ieee_invalid_op 0
		.amdhsa_exception_fp_denorm_src 0
		.amdhsa_exception_fp_ieee_div_zero 0
		.amdhsa_exception_fp_ieee_overflow 0
		.amdhsa_exception_fp_ieee_underflow 0
		.amdhsa_exception_fp_ieee_inexact 0
		.amdhsa_exception_int_div_zero 0
	.end_amdhsa_kernel
	.section	.text._Z6kernelI13subtract_leftLj256ELj32ELb0EJPfS1_jEEvDpT3_,"axG",@progbits,_Z6kernelI13subtract_leftLj256ELj32ELb0EJPfS1_jEEvDpT3_,comdat
.Lfunc_end11:
	.size	_Z6kernelI13subtract_leftLj256ELj32ELb0EJPfS1_jEEvDpT3_, .Lfunc_end11-_Z6kernelI13subtract_leftLj256ELj32ELb0EJPfS1_jEEvDpT3_
                                        ; -- End function
	.set _Z6kernelI13subtract_leftLj256ELj32ELb0EJPfS1_jEEvDpT3_.num_vgpr, 66
	.set _Z6kernelI13subtract_leftLj256ELj32ELb0EJPfS1_jEEvDpT3_.num_agpr, 0
	.set _Z6kernelI13subtract_leftLj256ELj32ELb0EJPfS1_jEEvDpT3_.numbered_sgpr, 8
	.set _Z6kernelI13subtract_leftLj256ELj32ELb0EJPfS1_jEEvDpT3_.num_named_barrier, 0
	.set _Z6kernelI13subtract_leftLj256ELj32ELb0EJPfS1_jEEvDpT3_.private_seg_size, 0
	.set _Z6kernelI13subtract_leftLj256ELj32ELb0EJPfS1_jEEvDpT3_.uses_vcc, 1
	.set _Z6kernelI13subtract_leftLj256ELj32ELb0EJPfS1_jEEvDpT3_.uses_flat_scratch, 0
	.set _Z6kernelI13subtract_leftLj256ELj32ELb0EJPfS1_jEEvDpT3_.has_dyn_sized_stack, 0
	.set _Z6kernelI13subtract_leftLj256ELj32ELb0EJPfS1_jEEvDpT3_.has_recursion, 0
	.set _Z6kernelI13subtract_leftLj256ELj32ELb0EJPfS1_jEEvDpT3_.has_indirect_call, 0
	.section	.AMDGPU.csdata,"",@progbits
; Kernel info:
; codeLenInByte = 1340
; TotalNumSgprs: 10
; NumVgprs: 66
; ScratchSize: 0
; MemoryBound: 0
; FloatMode: 240
; IeeeMode: 1
; LDSByteSize: 2048 bytes/workgroup (compile time only)
; SGPRBlocks: 0
; VGPRBlocks: 8
; NumSGPRsForWavesPerEU: 10
; NumVGPRsForWavesPerEU: 66
; Occupancy: 16
; WaveLimiterHint : 1
; COMPUTE_PGM_RSRC2:SCRATCH_EN: 0
; COMPUTE_PGM_RSRC2:USER_SGPR: 2
; COMPUTE_PGM_RSRC2:TRAP_HANDLER: 0
; COMPUTE_PGM_RSRC2:TGID_X_EN: 1
; COMPUTE_PGM_RSRC2:TGID_Y_EN: 0
; COMPUTE_PGM_RSRC2:TGID_Z_EN: 0
; COMPUTE_PGM_RSRC2:TIDIG_COMP_CNT: 0
	.section	.text._Z6kernelI13subtract_leftLj256ELj1ELb0EJPaS1_jEEvDpT3_,"axG",@progbits,_Z6kernelI13subtract_leftLj256ELj1ELb0EJPaS1_jEEvDpT3_,comdat
	.protected	_Z6kernelI13subtract_leftLj256ELj1ELb0EJPaS1_jEEvDpT3_ ; -- Begin function _Z6kernelI13subtract_leftLj256ELj1ELb0EJPaS1_jEEvDpT3_
	.globl	_Z6kernelI13subtract_leftLj256ELj1ELb0EJPaS1_jEEvDpT3_
	.p2align	8
	.type	_Z6kernelI13subtract_leftLj256ELj1ELb0EJPaS1_jEEvDpT3_,@function
_Z6kernelI13subtract_leftLj256ELj1ELb0EJPaS1_jEEvDpT3_: ; @_Z6kernelI13subtract_leftLj256ELj1ELb0EJPaS1_jEEvDpT3_
; %bb.0:
	s_load_b128 s[4:7], s[0:1], 0x0
	s_lshl_b32 s2, ttmp9, 8
	s_mov_b32 s3, 0
	s_load_b32 s0, s[0:1], 0x10
	s_wait_kmcnt 0x0
	s_add_nc_u64 s[4:5], s[4:5], s[2:3]
	global_load_u8 v1, v0, s[4:5]
	s_cmp_eq_u32 s0, 0
	s_cbranch_scc1 .LBB12_5
; %bb.1:
	v_add_nc_u32_e32 v2, -1, v0
	v_cmp_ne_u32_e32 vcc_lo, 0, v0
	s_branch .LBB12_3
.LBB12_2:                               ;   in Loop: Header=BB12_3 Depth=1
	s_or_b32 exec_lo, exec_lo, s1
	s_delay_alu instid0(VALU_DEP_1)
	v_add_nc_u16 v1, v3, v1
	s_add_co_i32 s0, s0, -1
	s_wait_loadcnt 0x0
	s_cmp_lg_u32 s0, 0
	s_barrier_signal -1
	s_barrier_wait -1
	global_inv scope:SCOPE_SE
	s_cbranch_scc0 .LBB12_5
.LBB12_3:                               ; =>This Inner Loop Header: Depth=1
	s_wait_loadcnt 0x0
	v_mov_b32_e32 v3, v1
	ds_store_b8 v0, v1
	s_wait_dscnt 0x0
	s_barrier_signal -1
	s_barrier_wait -1
	global_inv scope:SCOPE_SE
	s_and_saveexec_b32 s1, vcc_lo
	s_cbranch_execz .LBB12_2
; %bb.4:                                ;   in Loop: Header=BB12_3 Depth=1
	ds_load_u8 v3, v2
	s_wait_dscnt 0x0
	v_sub_nc_u16 v3, v1, v3
	s_branch .LBB12_2
.LBB12_5:
	s_add_nc_u64 s[0:1], s[6:7], s[2:3]
	s_delay_alu instid0(SALU_CYCLE_1)
	v_add_co_u32 v2, s0, s0, v0
	s_wait_alu 0xf1ff
	v_add_co_ci_u32_e64 v3, null, s1, 0, s0
	s_wait_loadcnt 0x0
	global_store_b8 v[2:3], v1, off
	s_endpgm
	.section	.rodata,"a",@progbits
	.p2align	6, 0x0
	.amdhsa_kernel _Z6kernelI13subtract_leftLj256ELj1ELb0EJPaS1_jEEvDpT3_
		.amdhsa_group_segment_fixed_size 512
		.amdhsa_private_segment_fixed_size 0
		.amdhsa_kernarg_size 20
		.amdhsa_user_sgpr_count 2
		.amdhsa_user_sgpr_dispatch_ptr 0
		.amdhsa_user_sgpr_queue_ptr 0
		.amdhsa_user_sgpr_kernarg_segment_ptr 1
		.amdhsa_user_sgpr_dispatch_id 0
		.amdhsa_user_sgpr_private_segment_size 0
		.amdhsa_wavefront_size32 1
		.amdhsa_uses_dynamic_stack 0
		.amdhsa_enable_private_segment 0
		.amdhsa_system_sgpr_workgroup_id_x 1
		.amdhsa_system_sgpr_workgroup_id_y 0
		.amdhsa_system_sgpr_workgroup_id_z 0
		.amdhsa_system_sgpr_workgroup_info 0
		.amdhsa_system_vgpr_workitem_id 0
		.amdhsa_next_free_vgpr 4
		.amdhsa_next_free_sgpr 8
		.amdhsa_reserve_vcc 1
		.amdhsa_float_round_mode_32 0
		.amdhsa_float_round_mode_16_64 0
		.amdhsa_float_denorm_mode_32 3
		.amdhsa_float_denorm_mode_16_64 3
		.amdhsa_fp16_overflow 0
		.amdhsa_workgroup_processor_mode 1
		.amdhsa_memory_ordered 1
		.amdhsa_forward_progress 1
		.amdhsa_inst_pref_size 2
		.amdhsa_round_robin_scheduling 0
		.amdhsa_exception_fp_ieee_invalid_op 0
		.amdhsa_exception_fp_denorm_src 0
		.amdhsa_exception_fp_ieee_div_zero 0
		.amdhsa_exception_fp_ieee_overflow 0
		.amdhsa_exception_fp_ieee_underflow 0
		.amdhsa_exception_fp_ieee_inexact 0
		.amdhsa_exception_int_div_zero 0
	.end_amdhsa_kernel
	.section	.text._Z6kernelI13subtract_leftLj256ELj1ELb0EJPaS1_jEEvDpT3_,"axG",@progbits,_Z6kernelI13subtract_leftLj256ELj1ELb0EJPaS1_jEEvDpT3_,comdat
.Lfunc_end12:
	.size	_Z6kernelI13subtract_leftLj256ELj1ELb0EJPaS1_jEEvDpT3_, .Lfunc_end12-_Z6kernelI13subtract_leftLj256ELj1ELb0EJPaS1_jEEvDpT3_
                                        ; -- End function
	.set _Z6kernelI13subtract_leftLj256ELj1ELb0EJPaS1_jEEvDpT3_.num_vgpr, 4
	.set _Z6kernelI13subtract_leftLj256ELj1ELb0EJPaS1_jEEvDpT3_.num_agpr, 0
	.set _Z6kernelI13subtract_leftLj256ELj1ELb0EJPaS1_jEEvDpT3_.numbered_sgpr, 8
	.set _Z6kernelI13subtract_leftLj256ELj1ELb0EJPaS1_jEEvDpT3_.num_named_barrier, 0
	.set _Z6kernelI13subtract_leftLj256ELj1ELb0EJPaS1_jEEvDpT3_.private_seg_size, 0
	.set _Z6kernelI13subtract_leftLj256ELj1ELb0EJPaS1_jEEvDpT3_.uses_vcc, 1
	.set _Z6kernelI13subtract_leftLj256ELj1ELb0EJPaS1_jEEvDpT3_.uses_flat_scratch, 0
	.set _Z6kernelI13subtract_leftLj256ELj1ELb0EJPaS1_jEEvDpT3_.has_dyn_sized_stack, 0
	.set _Z6kernelI13subtract_leftLj256ELj1ELb0EJPaS1_jEEvDpT3_.has_recursion, 0
	.set _Z6kernelI13subtract_leftLj256ELj1ELb0EJPaS1_jEEvDpT3_.has_indirect_call, 0
	.section	.AMDGPU.csdata,"",@progbits
; Kernel info:
; codeLenInByte = 236
; TotalNumSgprs: 10
; NumVgprs: 4
; ScratchSize: 0
; MemoryBound: 0
; FloatMode: 240
; IeeeMode: 1
; LDSByteSize: 512 bytes/workgroup (compile time only)
; SGPRBlocks: 0
; VGPRBlocks: 0
; NumSGPRsForWavesPerEU: 10
; NumVGPRsForWavesPerEU: 4
; Occupancy: 16
; WaveLimiterHint : 0
; COMPUTE_PGM_RSRC2:SCRATCH_EN: 0
; COMPUTE_PGM_RSRC2:USER_SGPR: 2
; COMPUTE_PGM_RSRC2:TRAP_HANDLER: 0
; COMPUTE_PGM_RSRC2:TGID_X_EN: 1
; COMPUTE_PGM_RSRC2:TGID_Y_EN: 0
; COMPUTE_PGM_RSRC2:TGID_Z_EN: 0
; COMPUTE_PGM_RSRC2:TIDIG_COMP_CNT: 0
	.section	.text._Z6kernelI13subtract_leftLj256ELj3ELb0EJPaS1_jEEvDpT3_,"axG",@progbits,_Z6kernelI13subtract_leftLj256ELj3ELb0EJPaS1_jEEvDpT3_,comdat
	.protected	_Z6kernelI13subtract_leftLj256ELj3ELb0EJPaS1_jEEvDpT3_ ; -- Begin function _Z6kernelI13subtract_leftLj256ELj3ELb0EJPaS1_jEEvDpT3_
	.globl	_Z6kernelI13subtract_leftLj256ELj3ELb0EJPaS1_jEEvDpT3_
	.p2align	8
	.type	_Z6kernelI13subtract_leftLj256ELj3ELb0EJPaS1_jEEvDpT3_,@function
_Z6kernelI13subtract_leftLj256ELj3ELb0EJPaS1_jEEvDpT3_: ; @_Z6kernelI13subtract_leftLj256ELj3ELb0EJPaS1_jEEvDpT3_
; %bb.0:
	s_load_b128 s[4:7], s[0:1], 0x0
	s_mul_i32 s2, ttmp9, 0x300
	s_mov_b32 s3, 0
	s_load_b32 s0, s[0:1], 0x10
	s_wait_kmcnt 0x0
	s_add_nc_u64 s[4:5], s[4:5], s[2:3]
	s_clause 0x2
	global_load_u8 v1, v0, s[4:5] offset:256
	global_load_u8 v2, v0, s[4:5] offset:512
	global_load_u8 v3, v0, s[4:5]
	s_cmp_eq_u32 s0, 0
	s_wait_loadcnt 0x0
	v_perm_b32 v1, v3, v1, 0xc0c0004
	s_delay_alu instid0(VALU_DEP_1)
	v_lshl_or_b32 v1, v2, 16, v1
	s_cbranch_scc1 .LBB13_5
; %bb.1:
	v_add_nc_u32_e32 v2, -1, v0
	v_cmp_ne_u32_e32 vcc_lo, 0, v0
	s_branch .LBB13_3
.LBB13_2:                               ;   in Loop: Header=BB13_3 Depth=1
	s_or_b32 exec_lo, exec_lo, s1
	v_lshrrev_b32_e32 v5, 8, v1
	v_lshrrev_b16 v8, 8, v1
	s_add_co_i32 s0, s0, -1
	s_wait_loadcnt 0x0
	s_cmp_lg_u32 s0, 0
	v_sub_nc_u16 v6, v3, v5
	v_sub_nc_u16 v5, v5, v1
	v_add_nc_u16 v1, v4, v1
	s_barrier_signal -1
	s_barrier_wait -1
	v_lshlrev_b16 v7, 8, v6
	v_and_b32_e32 v5, 0xff, v5
	v_and_b32_e32 v6, 0xff, v6
	global_inv scope:SCOPE_SE
	v_or_b32_e32 v5, v5, v7
	v_add_nc_u16 v3, v6, v3
	s_delay_alu instid0(VALU_DEP_2) | instskip(NEXT) | instid1(VALU_DEP_2)
	v_add_nc_u16 v5, v5, v8
	v_and_b32_e32 v3, 0xff, v3
	s_delay_alu instid0(VALU_DEP_2) | instskip(NEXT) | instid1(VALU_DEP_2)
	v_lshlrev_b16 v4, 8, v5
	v_lshlrev_b32_e32 v3, 16, v3
	s_delay_alu instid0(VALU_DEP_2) | instskip(NEXT) | instid1(VALU_DEP_1)
	v_perm_b32 v1, v1, v4, 0xc0c0104
	v_or_b32_e32 v1, v1, v3
	s_cbranch_scc0 .LBB13_5
.LBB13_3:                               ; =>This Inner Loop Header: Depth=1
	s_delay_alu instid0(VALU_DEP_1)
	v_lshrrev_b32_e32 v3, 16, v1
	v_mov_b32_e32 v4, v1
	ds_store_b8 v0, v3
	s_wait_dscnt 0x0
	s_barrier_signal -1
	s_barrier_wait -1
	global_inv scope:SCOPE_SE
	s_and_saveexec_b32 s1, vcc_lo
	s_cbranch_execz .LBB13_2
; %bb.4:                                ;   in Loop: Header=BB13_3 Depth=1
	ds_load_u8 v4, v2
	s_wait_dscnt 0x0
	v_sub_nc_u16 v4, v1, v4
	s_branch .LBB13_2
.LBB13_5:
	s_add_nc_u64 s[0:1], s[6:7], s[2:3]
	s_delay_alu instid0(SALU_CYCLE_1)
	v_add_co_u32 v2, s0, s0, v0
	s_wait_alu 0xf1ff
	v_add_co_ci_u32_e64 v3, null, s1, 0, s0
	v_lshrrev_b32_e32 v0, 8, v1
	s_clause 0x2
	global_store_b8 v[2:3], v1, off
	global_store_b8 v[2:3], v0, off offset:256
	global_store_d16_hi_b8 v[2:3], v1, off offset:512
	s_endpgm
	.section	.rodata,"a",@progbits
	.p2align	6, 0x0
	.amdhsa_kernel _Z6kernelI13subtract_leftLj256ELj3ELb0EJPaS1_jEEvDpT3_
		.amdhsa_group_segment_fixed_size 512
		.amdhsa_private_segment_fixed_size 0
		.amdhsa_kernarg_size 20
		.amdhsa_user_sgpr_count 2
		.amdhsa_user_sgpr_dispatch_ptr 0
		.amdhsa_user_sgpr_queue_ptr 0
		.amdhsa_user_sgpr_kernarg_segment_ptr 1
		.amdhsa_user_sgpr_dispatch_id 0
		.amdhsa_user_sgpr_private_segment_size 0
		.amdhsa_wavefront_size32 1
		.amdhsa_uses_dynamic_stack 0
		.amdhsa_enable_private_segment 0
		.amdhsa_system_sgpr_workgroup_id_x 1
		.amdhsa_system_sgpr_workgroup_id_y 0
		.amdhsa_system_sgpr_workgroup_id_z 0
		.amdhsa_system_sgpr_workgroup_info 0
		.amdhsa_system_vgpr_workitem_id 0
		.amdhsa_next_free_vgpr 9
		.amdhsa_next_free_sgpr 8
		.amdhsa_reserve_vcc 1
		.amdhsa_float_round_mode_32 0
		.amdhsa_float_round_mode_16_64 0
		.amdhsa_float_denorm_mode_32 3
		.amdhsa_float_denorm_mode_16_64 3
		.amdhsa_fp16_overflow 0
		.amdhsa_workgroup_processor_mode 1
		.amdhsa_memory_ordered 1
		.amdhsa_forward_progress 1
		.amdhsa_inst_pref_size 4
		.amdhsa_round_robin_scheduling 0
		.amdhsa_exception_fp_ieee_invalid_op 0
		.amdhsa_exception_fp_denorm_src 0
		.amdhsa_exception_fp_ieee_div_zero 0
		.amdhsa_exception_fp_ieee_overflow 0
		.amdhsa_exception_fp_ieee_underflow 0
		.amdhsa_exception_fp_ieee_inexact 0
		.amdhsa_exception_int_div_zero 0
	.end_amdhsa_kernel
	.section	.text._Z6kernelI13subtract_leftLj256ELj3ELb0EJPaS1_jEEvDpT3_,"axG",@progbits,_Z6kernelI13subtract_leftLj256ELj3ELb0EJPaS1_jEEvDpT3_,comdat
.Lfunc_end13:
	.size	_Z6kernelI13subtract_leftLj256ELj3ELb0EJPaS1_jEEvDpT3_, .Lfunc_end13-_Z6kernelI13subtract_leftLj256ELj3ELb0EJPaS1_jEEvDpT3_
                                        ; -- End function
	.set _Z6kernelI13subtract_leftLj256ELj3ELb0EJPaS1_jEEvDpT3_.num_vgpr, 9
	.set _Z6kernelI13subtract_leftLj256ELj3ELb0EJPaS1_jEEvDpT3_.num_agpr, 0
	.set _Z6kernelI13subtract_leftLj256ELj3ELb0EJPaS1_jEEvDpT3_.numbered_sgpr, 8
	.set _Z6kernelI13subtract_leftLj256ELj3ELb0EJPaS1_jEEvDpT3_.num_named_barrier, 0
	.set _Z6kernelI13subtract_leftLj256ELj3ELb0EJPaS1_jEEvDpT3_.private_seg_size, 0
	.set _Z6kernelI13subtract_leftLj256ELj3ELb0EJPaS1_jEEvDpT3_.uses_vcc, 1
	.set _Z6kernelI13subtract_leftLj256ELj3ELb0EJPaS1_jEEvDpT3_.uses_flat_scratch, 0
	.set _Z6kernelI13subtract_leftLj256ELj3ELb0EJPaS1_jEEvDpT3_.has_dyn_sized_stack, 0
	.set _Z6kernelI13subtract_leftLj256ELj3ELb0EJPaS1_jEEvDpT3_.has_recursion, 0
	.set _Z6kernelI13subtract_leftLj256ELj3ELb0EJPaS1_jEEvDpT3_.has_indirect_call, 0
	.section	.AMDGPU.csdata,"",@progbits
; Kernel info:
; codeLenInByte = 444
; TotalNumSgprs: 10
; NumVgprs: 9
; ScratchSize: 0
; MemoryBound: 0
; FloatMode: 240
; IeeeMode: 1
; LDSByteSize: 512 bytes/workgroup (compile time only)
; SGPRBlocks: 0
; VGPRBlocks: 1
; NumSGPRsForWavesPerEU: 10
; NumVGPRsForWavesPerEU: 9
; Occupancy: 16
; WaveLimiterHint : 1
; COMPUTE_PGM_RSRC2:SCRATCH_EN: 0
; COMPUTE_PGM_RSRC2:USER_SGPR: 2
; COMPUTE_PGM_RSRC2:TRAP_HANDLER: 0
; COMPUTE_PGM_RSRC2:TGID_X_EN: 1
; COMPUTE_PGM_RSRC2:TGID_Y_EN: 0
; COMPUTE_PGM_RSRC2:TGID_Z_EN: 0
; COMPUTE_PGM_RSRC2:TIDIG_COMP_CNT: 0
	.section	.text._Z6kernelI13subtract_leftLj256ELj4ELb0EJPaS1_jEEvDpT3_,"axG",@progbits,_Z6kernelI13subtract_leftLj256ELj4ELb0EJPaS1_jEEvDpT3_,comdat
	.protected	_Z6kernelI13subtract_leftLj256ELj4ELb0EJPaS1_jEEvDpT3_ ; -- Begin function _Z6kernelI13subtract_leftLj256ELj4ELb0EJPaS1_jEEvDpT3_
	.globl	_Z6kernelI13subtract_leftLj256ELj4ELb0EJPaS1_jEEvDpT3_
	.p2align	8
	.type	_Z6kernelI13subtract_leftLj256ELj4ELb0EJPaS1_jEEvDpT3_,@function
_Z6kernelI13subtract_leftLj256ELj4ELb0EJPaS1_jEEvDpT3_: ; @_Z6kernelI13subtract_leftLj256ELj4ELb0EJPaS1_jEEvDpT3_
; %bb.0:
	s_load_b128 s[4:7], s[0:1], 0x0
	s_lshl_b32 s2, ttmp9, 10
	s_mov_b32 s3, 0
	s_load_b32 s0, s[0:1], 0x10
	s_wait_kmcnt 0x0
	s_add_nc_u64 s[4:5], s[4:5], s[2:3]
	s_clause 0x3
	global_load_u8 v1, v0, s[4:5] offset:256
	global_load_u8 v2, v0, s[4:5] offset:512
	global_load_u8 v3, v0, s[4:5]
	global_load_u8 v4, v0, s[4:5] offset:768
	s_cmp_eq_u32 s0, 0
	s_wait_loadcnt 0x1
	v_perm_b32 v1, v3, v1, 0xc0c0004
	s_wait_loadcnt 0x0
	v_perm_b32 v2, v2, v4, 0xc0c0004
	s_delay_alu instid0(VALU_DEP_1)
	v_lshl_or_b32 v1, v2, 16, v1
	s_cbranch_scc1 .LBB14_5
; %bb.1:
	v_add_nc_u32_e32 v2, -1, v0
	v_cmp_ne_u32_e32 vcc_lo, 0, v0
	s_branch .LBB14_3
.LBB14_2:                               ;   in Loop: Header=BB14_3 Depth=1
	s_or_b32 exec_lo, exec_lo, s1
	v_lshrrev_b32_e32 v5, 16, v1
	v_lshrrev_b32_e32 v6, 8, v1
	v_lshrrev_b16 v10, 8, v1
	s_add_co_i32 s0, s0, -1
	s_wait_loadcnt 0x0
	v_sub_nc_u16 v7, v3, v5
	v_sub_nc_u16 v8, v5, v6
	;; [unrolled: 1-line block ×3, first 2 shown]
	v_add_nc_u16 v1, v4, v1
	s_cmp_lg_u32 s0, 0
	v_lshlrev_b16 v9, 8, v7
	v_and_b32_e32 v8, 0xff, v8
	v_and_b32_e32 v7, 0xff, v7
	v_add_nc_u16 v4, v6, v10
	v_and_b32_e32 v1, 0xff, v1
	s_barrier_signal -1
	v_or_b32_e32 v8, v8, v9
	v_add_nc_u16 v3, v7, v3
	v_lshlrev_b16 v4, 8, v4
	s_barrier_wait -1
	global_inv scope:SCOPE_SE
	v_add_nc_u16 v5, v8, v5
	v_lshlrev_b16 v3, 8, v3
	v_or_b32_e32 v1, v1, v4
	s_delay_alu instid0(VALU_DEP_3) | instskip(NEXT) | instid1(VALU_DEP_2)
	v_and_b32_e32 v5, 0xff, v5
	v_and_b32_e32 v1, 0xffff, v1
	s_delay_alu instid0(VALU_DEP_2) | instskip(NEXT) | instid1(VALU_DEP_1)
	v_or_b32_e32 v3, v5, v3
	v_lshlrev_b32_e32 v3, 16, v3
	s_delay_alu instid0(VALU_DEP_1)
	v_or_b32_e32 v1, v1, v3
	s_cbranch_scc0 .LBB14_5
.LBB14_3:                               ; =>This Inner Loop Header: Depth=1
	s_delay_alu instid0(VALU_DEP_1)
	v_lshrrev_b32_e32 v3, 24, v1
	v_mov_b32_e32 v4, v1
	ds_store_b8 v0, v3
	s_wait_dscnt 0x0
	s_barrier_signal -1
	s_barrier_wait -1
	global_inv scope:SCOPE_SE
	s_and_saveexec_b32 s1, vcc_lo
	s_cbranch_execz .LBB14_2
; %bb.4:                                ;   in Loop: Header=BB14_3 Depth=1
	ds_load_u8 v4, v2
	s_wait_dscnt 0x0
	v_sub_nc_u16 v4, v1, v4
	s_branch .LBB14_2
.LBB14_5:
	s_add_nc_u64 s[0:1], s[6:7], s[2:3]
	s_delay_alu instid0(VALU_DEP_1)
	v_lshrrev_b32_e32 v4, 24, v1
	v_add_co_u32 v2, s0, s0, v0
	s_wait_alu 0xf1ff
	v_add_co_ci_u32_e64 v3, null, s1, 0, s0
	v_lshrrev_b32_e32 v0, 8, v1
	s_clause 0x3
	global_store_b8 v[2:3], v1, off
	global_store_b8 v[2:3], v0, off offset:256
	global_store_d16_hi_b8 v[2:3], v1, off offset:512
	global_store_b8 v[2:3], v4, off offset:768
	s_endpgm
	.section	.rodata,"a",@progbits
	.p2align	6, 0x0
	.amdhsa_kernel _Z6kernelI13subtract_leftLj256ELj4ELb0EJPaS1_jEEvDpT3_
		.amdhsa_group_segment_fixed_size 512
		.amdhsa_private_segment_fixed_size 0
		.amdhsa_kernarg_size 20
		.amdhsa_user_sgpr_count 2
		.amdhsa_user_sgpr_dispatch_ptr 0
		.amdhsa_user_sgpr_queue_ptr 0
		.amdhsa_user_sgpr_kernarg_segment_ptr 1
		.amdhsa_user_sgpr_dispatch_id 0
		.amdhsa_user_sgpr_private_segment_size 0
		.amdhsa_wavefront_size32 1
		.amdhsa_uses_dynamic_stack 0
		.amdhsa_enable_private_segment 0
		.amdhsa_system_sgpr_workgroup_id_x 1
		.amdhsa_system_sgpr_workgroup_id_y 0
		.amdhsa_system_sgpr_workgroup_id_z 0
		.amdhsa_system_sgpr_workgroup_info 0
		.amdhsa_system_vgpr_workitem_id 0
		.amdhsa_next_free_vgpr 11
		.amdhsa_next_free_sgpr 8
		.amdhsa_reserve_vcc 1
		.amdhsa_float_round_mode_32 0
		.amdhsa_float_round_mode_16_64 0
		.amdhsa_float_denorm_mode_32 3
		.amdhsa_float_denorm_mode_16_64 3
		.amdhsa_fp16_overflow 0
		.amdhsa_workgroup_processor_mode 1
		.amdhsa_memory_ordered 1
		.amdhsa_forward_progress 1
		.amdhsa_inst_pref_size 5
		.amdhsa_round_robin_scheduling 0
		.amdhsa_exception_fp_ieee_invalid_op 0
		.amdhsa_exception_fp_denorm_src 0
		.amdhsa_exception_fp_ieee_div_zero 0
		.amdhsa_exception_fp_ieee_overflow 0
		.amdhsa_exception_fp_ieee_underflow 0
		.amdhsa_exception_fp_ieee_inexact 0
		.amdhsa_exception_int_div_zero 0
	.end_amdhsa_kernel
	.section	.text._Z6kernelI13subtract_leftLj256ELj4ELb0EJPaS1_jEEvDpT3_,"axG",@progbits,_Z6kernelI13subtract_leftLj256ELj4ELb0EJPaS1_jEEvDpT3_,comdat
.Lfunc_end14:
	.size	_Z6kernelI13subtract_leftLj256ELj4ELb0EJPaS1_jEEvDpT3_, .Lfunc_end14-_Z6kernelI13subtract_leftLj256ELj4ELb0EJPaS1_jEEvDpT3_
                                        ; -- End function
	.set _Z6kernelI13subtract_leftLj256ELj4ELb0EJPaS1_jEEvDpT3_.num_vgpr, 11
	.set _Z6kernelI13subtract_leftLj256ELj4ELb0EJPaS1_jEEvDpT3_.num_agpr, 0
	.set _Z6kernelI13subtract_leftLj256ELj4ELb0EJPaS1_jEEvDpT3_.numbered_sgpr, 8
	.set _Z6kernelI13subtract_leftLj256ELj4ELb0EJPaS1_jEEvDpT3_.num_named_barrier, 0
	.set _Z6kernelI13subtract_leftLj256ELj4ELb0EJPaS1_jEEvDpT3_.private_seg_size, 0
	.set _Z6kernelI13subtract_leftLj256ELj4ELb0EJPaS1_jEEvDpT3_.uses_vcc, 1
	.set _Z6kernelI13subtract_leftLj256ELj4ELb0EJPaS1_jEEvDpT3_.uses_flat_scratch, 0
	.set _Z6kernelI13subtract_leftLj256ELj4ELb0EJPaS1_jEEvDpT3_.has_dyn_sized_stack, 0
	.set _Z6kernelI13subtract_leftLj256ELj4ELb0EJPaS1_jEEvDpT3_.has_recursion, 0
	.set _Z6kernelI13subtract_leftLj256ELj4ELb0EJPaS1_jEEvDpT3_.has_indirect_call, 0
	.section	.AMDGPU.csdata,"",@progbits
; Kernel info:
; codeLenInByte = 524
; TotalNumSgprs: 10
; NumVgprs: 11
; ScratchSize: 0
; MemoryBound: 0
; FloatMode: 240
; IeeeMode: 1
; LDSByteSize: 512 bytes/workgroup (compile time only)
; SGPRBlocks: 0
; VGPRBlocks: 1
; NumSGPRsForWavesPerEU: 10
; NumVGPRsForWavesPerEU: 11
; Occupancy: 16
; WaveLimiterHint : 1
; COMPUTE_PGM_RSRC2:SCRATCH_EN: 0
; COMPUTE_PGM_RSRC2:USER_SGPR: 2
; COMPUTE_PGM_RSRC2:TRAP_HANDLER: 0
; COMPUTE_PGM_RSRC2:TGID_X_EN: 1
; COMPUTE_PGM_RSRC2:TGID_Y_EN: 0
; COMPUTE_PGM_RSRC2:TGID_Z_EN: 0
; COMPUTE_PGM_RSRC2:TIDIG_COMP_CNT: 0
	.section	.text._Z6kernelI13subtract_leftLj256ELj8ELb0EJPaS1_jEEvDpT3_,"axG",@progbits,_Z6kernelI13subtract_leftLj256ELj8ELb0EJPaS1_jEEvDpT3_,comdat
	.protected	_Z6kernelI13subtract_leftLj256ELj8ELb0EJPaS1_jEEvDpT3_ ; -- Begin function _Z6kernelI13subtract_leftLj256ELj8ELb0EJPaS1_jEEvDpT3_
	.globl	_Z6kernelI13subtract_leftLj256ELj8ELb0EJPaS1_jEEvDpT3_
	.p2align	8
	.type	_Z6kernelI13subtract_leftLj256ELj8ELb0EJPaS1_jEEvDpT3_,@function
_Z6kernelI13subtract_leftLj256ELj8ELb0EJPaS1_jEEvDpT3_: ; @_Z6kernelI13subtract_leftLj256ELj8ELb0EJPaS1_jEEvDpT3_
; %bb.0:
	s_load_b128 s[4:7], s[0:1], 0x0
	s_lshl_b32 s2, ttmp9, 11
	s_mov_b32 s3, 0
	s_load_b32 s0, s[0:1], 0x10
	s_wait_kmcnt 0x0
	s_add_nc_u64 s[4:5], s[4:5], s[2:3]
	s_clause 0x7
	global_load_u8 v1, v0, s[4:5] offset:256
	global_load_u8 v2, v0, s[4:5] offset:1536
	;; [unrolled: 1-line block ×4, first 2 shown]
	global_load_u8 v5, v0, s[4:5]
	global_load_u8 v6, v0, s[4:5] offset:768
	global_load_u8 v7, v0, s[4:5] offset:1280
	;; [unrolled: 1-line block ×3, first 2 shown]
	s_cmp_eq_u32 s0, 0
	s_wait_loadcnt 0x3
	v_perm_b32 v1, v5, v1, 0xc0c0004
	s_wait_loadcnt 0x2
	v_perm_b32 v4, v4, v6, 0xc0c0004
	;; [unrolled: 2-line block ×4, first 2 shown]
	v_lshl_or_b32 v2, v4, 16, v1
	s_delay_alu instid0(VALU_DEP_2)
	v_lshl_or_b32 v1, v5, 16, v3
	s_cbranch_scc1 .LBB15_5
; %bb.1:
	v_add_nc_u32_e32 v3, -1, v0
	v_cmp_ne_u32_e32 vcc_lo, 0, v0
	s_branch .LBB15_3
.LBB15_2:                               ;   in Loop: Header=BB15_3 Depth=1
	s_or_b32 exec_lo, exec_lo, s1
	s_delay_alu instid0(VALU_DEP_1)
	v_lshrrev_b16 v10, 8, v11
	v_lshrrev_b16 v12, 8, v1
	v_lshrrev_b32_e32 v14, 24, v9
	v_lshrrev_b16 v15, 8, v9
	v_lshrrev_b32_e32 v16, 16, v9
	v_add_nc_u16 v8, v10, v8
	v_add_nc_u16 v1, v9, v1
	;; [unrolled: 1-line block ×4, first 2 shown]
	v_lshrrev_b32_e32 v10, 24, v11
	v_lshlrev_b16 v8, 8, v8
	v_add_nc_u16 v2, v11, v2
	v_lshlrev_b16 v7, 8, v7
	v_lshlrev_b16 v9, 8, v12
	v_add_nc_u16 v5, v16, v5
	v_lshrrev_b32_e32 v8, 8, v8
	v_lshrrev_b32_e32 v13, 16, v11
	;; [unrolled: 1-line block ×4, first 2 shown]
	v_add_nc_u16 v6, v10, v6
	v_lshlrev_b16 v8, 8, v8
	v_and_b32_e32 v2, 0xff, v2
	v_and_b32_e32 v5, 0xff, v5
	v_lshlrev_b16 v7, 8, v7
	v_lshlrev_b16 v9, 8, v9
	v_and_b32_e32 v1, 0xff, v1
	v_lshlrev_b16 v6, 8, v6
	v_add_nc_u16 v4, v13, v4
	v_or_b32_e32 v2, v2, v8
	v_or_b32_e32 v5, v5, v7
	;; [unrolled: 1-line block ×3, first 2 shown]
	s_add_co_i32 s0, s0, -1
	v_perm_b32 v4, v4, v6, 0xc0c0104
	v_and_b32_e32 v2, 0xffff, v2
	v_lshlrev_b32_e32 v5, 16, v5
	v_and_b32_e32 v1, 0xffff, v1
	s_cmp_lg_u32 s0, 0
	s_wait_loadcnt 0x0
	v_lshl_or_b32 v2, v4, 16, v2
	s_barrier_signal -1
	v_or_b32_e32 v1, v1, v5
	s_barrier_wait -1
	global_inv scope:SCOPE_SE
	s_cbranch_scc0 .LBB15_5
.LBB15_3:                               ; =>This Inner Loop Header: Depth=1
	v_lshrrev_b32_e32 v6, 8, v2
	v_and_b32_e32 v9, 0xff, v2
	v_lshrrev_b32_e32 v4, 16, v2
	v_lshrrev_b16 v8, 8, v2
	v_lshrrev_b32_e32 v5, 16, v1
	v_sub_nc_u16 v10, v6, v2
	v_lshrrev_b32_e32 v6, 24, v2
	v_lshrrev_b32_e32 v7, 24, v1
	v_sub_nc_u16 v15, v4, v8
	v_lshrrev_b32_e32 v11, 8, v1
	v_lshlrev_b16 v10, 8, v10
	v_sub_nc_u16 v14, v6, v4
	v_sub_nc_u16 v12, v7, v5
	v_and_b32_e32 v15, 0xff, v15
	v_sub_nc_u16 v13, v5, v11
	v_or_b32_e32 v9, v9, v10
	v_lshlrev_b16 v14, 8, v14
	v_sub_nc_u16 v16, v1, v6
	v_sub_nc_u16 v11, v11, v1
	v_lshlrev_b16 v17, 8, v12
	v_and_b32_e32 v10, 0xffff, v9
	v_or_b32_e32 v12, v15, v14
	v_lshrrev_b32_e32 v14, 8, v14
	v_and_b32_e32 v16, 0xff, v16
	v_lshlrev_b16 v11, 8, v11
	v_lshrrev_b32_e32 v15, 8, v10
	v_and_b32_e32 v13, 0xff, v13
	v_and_b32_e32 v9, 0xff, v9
	;; [unrolled: 1-line block ×3, first 2 shown]
	v_lshlrev_b16 v14, 8, v14
	v_lshlrev_b16 v15, 8, v15
	v_or_b32_e32 v11, v16, v11
	v_or_b32_e32 v13, v13, v17
	ds_store_b8 v0, v7
	v_or_b32_e32 v14, v18, v14
	v_or_b32_e32 v9, v9, v15
	v_and_b32_e32 v11, 0xffff, v11
	v_lshlrev_b32_e32 v13, 16, v13
	s_wait_dscnt 0x0
	v_lshlrev_b32_e32 v14, 16, v14
	v_and_b32_e32 v15, 0xffff, v9
	s_barrier_signal -1
	v_or_b32_e32 v9, v11, v13
	s_barrier_wait -1
	global_inv scope:SCOPE_SE
	v_or_b32_e32 v11, v15, v14
	s_and_saveexec_b32 s1, vcc_lo
	s_cbranch_execz .LBB15_2
; %bb.4:                                ;   in Loop: Header=BB15_3 Depth=1
	ds_load_u8 v11, v3
	v_lshlrev_b32_e32 v12, 16, v12
	s_delay_alu instid0(VALU_DEP_1) | instskip(SKIP_2) | instid1(VALU_DEP_1)
	v_or_b32_e32 v10, v10, v12
	s_wait_dscnt 0x0
	v_sub_nc_u16 v11, v2, v11
	v_perm_b32 v11, v11, v10, 0x3020104
	s_branch .LBB15_2
.LBB15_5:
	s_add_nc_u64 s[0:1], s[6:7], s[2:3]
	s_delay_alu instid0(VALU_DEP_2)
	v_lshrrev_b32_e32 v5, 24, v2
	v_add_co_u32 v3, s0, s0, v0
	s_wait_alu 0xf1ff
	v_add_co_ci_u32_e64 v4, null, s1, 0, s0
	v_lshrrev_b32_e32 v0, 8, v2
	v_lshrrev_b32_e32 v6, 8, v1
	v_lshrrev_b32_e32 v7, 24, v1
	s_clause 0x7
	global_store_b8 v[3:4], v2, off
	global_store_b8 v[3:4], v0, off offset:256
	global_store_d16_hi_b8 v[3:4], v2, off offset:512
	global_store_b8 v[3:4], v5, off offset:768
	global_store_b8 v[3:4], v1, off offset:1024
	;; [unrolled: 1-line block ×3, first 2 shown]
	global_store_d16_hi_b8 v[3:4], v1, off offset:1536
	global_store_b8 v[3:4], v7, off offset:1792
	s_endpgm
	.section	.rodata,"a",@progbits
	.p2align	6, 0x0
	.amdhsa_kernel _Z6kernelI13subtract_leftLj256ELj8ELb0EJPaS1_jEEvDpT3_
		.amdhsa_group_segment_fixed_size 512
		.amdhsa_private_segment_fixed_size 0
		.amdhsa_kernarg_size 20
		.amdhsa_user_sgpr_count 2
		.amdhsa_user_sgpr_dispatch_ptr 0
		.amdhsa_user_sgpr_queue_ptr 0
		.amdhsa_user_sgpr_kernarg_segment_ptr 1
		.amdhsa_user_sgpr_dispatch_id 0
		.amdhsa_user_sgpr_private_segment_size 0
		.amdhsa_wavefront_size32 1
		.amdhsa_uses_dynamic_stack 0
		.amdhsa_enable_private_segment 0
		.amdhsa_system_sgpr_workgroup_id_x 1
		.amdhsa_system_sgpr_workgroup_id_y 0
		.amdhsa_system_sgpr_workgroup_id_z 0
		.amdhsa_system_sgpr_workgroup_info 0
		.amdhsa_system_vgpr_workitem_id 0
		.amdhsa_next_free_vgpr 19
		.amdhsa_next_free_sgpr 8
		.amdhsa_reserve_vcc 1
		.amdhsa_float_round_mode_32 0
		.amdhsa_float_round_mode_16_64 0
		.amdhsa_float_denorm_mode_32 3
		.amdhsa_float_denorm_mode_16_64 3
		.amdhsa_fp16_overflow 0
		.amdhsa_workgroup_processor_mode 1
		.amdhsa_memory_ordered 1
		.amdhsa_forward_progress 1
		.amdhsa_inst_pref_size 8
		.amdhsa_round_robin_scheduling 0
		.amdhsa_exception_fp_ieee_invalid_op 0
		.amdhsa_exception_fp_denorm_src 0
		.amdhsa_exception_fp_ieee_div_zero 0
		.amdhsa_exception_fp_ieee_overflow 0
		.amdhsa_exception_fp_ieee_underflow 0
		.amdhsa_exception_fp_ieee_inexact 0
		.amdhsa_exception_int_div_zero 0
	.end_amdhsa_kernel
	.section	.text._Z6kernelI13subtract_leftLj256ELj8ELb0EJPaS1_jEEvDpT3_,"axG",@progbits,_Z6kernelI13subtract_leftLj256ELj8ELb0EJPaS1_jEEvDpT3_,comdat
.Lfunc_end15:
	.size	_Z6kernelI13subtract_leftLj256ELj8ELb0EJPaS1_jEEvDpT3_, .Lfunc_end15-_Z6kernelI13subtract_leftLj256ELj8ELb0EJPaS1_jEEvDpT3_
                                        ; -- End function
	.set _Z6kernelI13subtract_leftLj256ELj8ELb0EJPaS1_jEEvDpT3_.num_vgpr, 19
	.set _Z6kernelI13subtract_leftLj256ELj8ELb0EJPaS1_jEEvDpT3_.num_agpr, 0
	.set _Z6kernelI13subtract_leftLj256ELj8ELb0EJPaS1_jEEvDpT3_.numbered_sgpr, 8
	.set _Z6kernelI13subtract_leftLj256ELj8ELb0EJPaS1_jEEvDpT3_.num_named_barrier, 0
	.set _Z6kernelI13subtract_leftLj256ELj8ELb0EJPaS1_jEEvDpT3_.private_seg_size, 0
	.set _Z6kernelI13subtract_leftLj256ELj8ELb0EJPaS1_jEEvDpT3_.uses_vcc, 1
	.set _Z6kernelI13subtract_leftLj256ELj8ELb0EJPaS1_jEEvDpT3_.uses_flat_scratch, 0
	.set _Z6kernelI13subtract_leftLj256ELj8ELb0EJPaS1_jEEvDpT3_.has_dyn_sized_stack, 0
	.set _Z6kernelI13subtract_leftLj256ELj8ELb0EJPaS1_jEEvDpT3_.has_recursion, 0
	.set _Z6kernelI13subtract_leftLj256ELj8ELb0EJPaS1_jEEvDpT3_.has_indirect_call, 0
	.section	.AMDGPU.csdata,"",@progbits
; Kernel info:
; codeLenInByte = 1024
; TotalNumSgprs: 10
; NumVgprs: 19
; ScratchSize: 0
; MemoryBound: 0
; FloatMode: 240
; IeeeMode: 1
; LDSByteSize: 512 bytes/workgroup (compile time only)
; SGPRBlocks: 0
; VGPRBlocks: 2
; NumSGPRsForWavesPerEU: 10
; NumVGPRsForWavesPerEU: 19
; Occupancy: 16
; WaveLimiterHint : 1
; COMPUTE_PGM_RSRC2:SCRATCH_EN: 0
; COMPUTE_PGM_RSRC2:USER_SGPR: 2
; COMPUTE_PGM_RSRC2:TRAP_HANDLER: 0
; COMPUTE_PGM_RSRC2:TGID_X_EN: 1
; COMPUTE_PGM_RSRC2:TGID_Y_EN: 0
; COMPUTE_PGM_RSRC2:TGID_Z_EN: 0
; COMPUTE_PGM_RSRC2:TIDIG_COMP_CNT: 0
	.section	.text._Z6kernelI13subtract_leftLj256ELj16ELb0EJPaS1_jEEvDpT3_,"axG",@progbits,_Z6kernelI13subtract_leftLj256ELj16ELb0EJPaS1_jEEvDpT3_,comdat
	.protected	_Z6kernelI13subtract_leftLj256ELj16ELb0EJPaS1_jEEvDpT3_ ; -- Begin function _Z6kernelI13subtract_leftLj256ELj16ELb0EJPaS1_jEEvDpT3_
	.globl	_Z6kernelI13subtract_leftLj256ELj16ELb0EJPaS1_jEEvDpT3_
	.p2align	8
	.type	_Z6kernelI13subtract_leftLj256ELj16ELb0EJPaS1_jEEvDpT3_,@function
_Z6kernelI13subtract_leftLj256ELj16ELb0EJPaS1_jEEvDpT3_: ; @_Z6kernelI13subtract_leftLj256ELj16ELb0EJPaS1_jEEvDpT3_
; %bb.0:
	s_load_b128 s[4:7], s[0:1], 0x0
	s_lshl_b32 s2, ttmp9, 12
	s_mov_b32 s3, 0
	s_load_b32 s0, s[0:1], 0x10
	s_wait_kmcnt 0x0
	s_add_nc_u64 s[4:5], s[4:5], s[2:3]
	s_clause 0xf
	global_load_u8 v1, v0, s[4:5] offset:256
	global_load_u8 v2, v0, s[4:5] offset:768
	;; [unrolled: 1-line block ×7, first 2 shown]
	global_load_u8 v8, v0, s[4:5]
	global_load_u8 v9, v0, s[4:5] offset:2304
	global_load_u8 v10, v0, s[4:5] offset:3584
	global_load_u8 v11, v0, s[4:5] offset:3072
	global_load_u8 v12, v0, s[4:5] offset:2560
	global_load_u8 v13, v0, s[4:5] offset:2048
	global_load_u8 v14, v0, s[4:5] offset:2816
	global_load_u8 v15, v0, s[4:5] offset:3328
	global_load_u8 v16, v0, s[4:5] offset:3840
	s_cmp_eq_u32 s0, 0
	s_wait_loadcnt 0xb
	v_perm_b32 v5, v5, v4, 0xc0c0004
	s_wait_loadcnt 0xa
	v_perm_b32 v3, v6, v3, 0xc0c0004
	s_wait_loadcnt 0x9
	v_perm_b32 v2, v7, v2, 0xc0c0004
	s_wait_loadcnt 0x8
	v_perm_b32 v1, v8, v1, 0xc0c0004
	v_lshl_or_b32 v3, v5, 16, v3
	s_wait_loadcnt 0x3
	v_perm_b32 v6, v13, v9, 0xc0c0004
	s_wait_loadcnt 0x2
	v_perm_b32 v7, v12, v14, 0xc0c0004
	;; [unrolled: 2-line block ×4, first 2 shown]
	v_lshl_or_b32 v4, v2, 16, v1
	v_lshl_or_b32 v1, v7, 16, v6
	s_delay_alu instid0(VALU_DEP_3)
	v_lshl_or_b32 v2, v9, 16, v8
	s_cbranch_scc1 .LBB16_5
; %bb.1:
	v_add_nc_u32_e32 v5, -1, v0
	v_cmp_ne_u32_e32 vcc_lo, 0, v0
	s_branch .LBB16_3
.LBB16_2:                               ;   in Loop: Header=BB16_3 Depth=1
	s_or_b32 exec_lo, exec_lo, s1
	v_lshrrev_b16 v17, 8, v2
	v_lshrrev_b16 v20, 8, v18
	v_lshrrev_b32_e32 v21, 24, v18
	v_lshrrev_b32_e32 v27, 16, v23
	v_lshrrev_b16 v26, 8, v22
	v_lshrrev_b32_e32 v31, 16, v18
	v_add_nc_u16 v17, v20, v17
	v_lshrrev_b32_e32 v20, 24, v23
	v_add_nc_u16 v15, v21, v15
	v_lshrrev_b16 v21, 8, v23
	v_add_nc_u16 v7, v27, v7
	v_lshlrev_b16 v17, 8, v17
	v_add_nc_u16 v11, v20, v11
	v_lshlrev_b16 v15, 8, v15
	v_add_nc_u16 v10, v21, v10
	v_lshrrev_b32_e32 v24, 24, v22
	v_lshrrev_b16 v29, 8, v25
	v_lshlrev_b16 v11, 8, v11
	v_lshrrev_b32_e32 v30, 24, v25
	v_lshlrev_b16 v10, 8, v10
	v_lshrrev_b32_e32 v17, 8, v17
	v_lshrrev_b32_e32 v15, 8, v15
	;; [unrolled: 1-line block ×3, first 2 shown]
	v_add_nc_u16 v13, v31, v13
	v_add_nc_u16 v8, v26, v8
	v_lshrrev_b32_e32 v10, 8, v10
	v_add_nc_u16 v2, v18, v2
	v_and_b32_e32 v7, 0xff, v7
	v_lshlrev_b16 v11, 8, v11
	v_add_nc_u16 v3, v23, v3
	v_lshrrev_b32_e32 v19, 16, v22
	v_lshrrev_b32_e32 v28, 16, v25
	v_add_nc_u16 v12, v29, v12
	v_add_nc_u16 v14, v30, v14
	;; [unrolled: 1-line block ×3, first 2 shown]
	v_lshlrev_b16 v8, 8, v8
	v_add_nc_u16 v4, v22, v4
	v_or_b32_e32 v7, v7, v11
	v_lshlrev_b16 v10, 8, v10
	v_and_b32_e32 v3, 0xff, v3
	v_and_b32_e32 v11, 0xff, v13
	v_lshlrev_b16 v13, 8, v15
	v_lshlrev_b16 v15, 8, v17
	v_and_b32_e32 v2, 0xff, v2
	v_lshlrev_b16 v12, 8, v12
	v_lshlrev_b16 v14, 8, v14
	v_add_nc_u16 v9, v28, v9
	v_lshlrev_b16 v16, 8, v16
	v_add_nc_u16 v6, v19, v6
	v_add_nc_u16 v1, v25, v1
	v_or_b32_e32 v3, v3, v10
	v_perm_b32 v4, v4, v8, 0xc0c0104
	v_or_b32_e32 v8, v11, v13
	v_or_b32_e32 v2, v2, v15
	v_perm_b32 v6, v6, v16, 0xc0c0104
	v_lshlrev_b32_e32 v7, 16, v7
	v_and_b32_e32 v3, 0xffff, v3
	v_perm_b32 v9, v9, v14, 0xc0c0104
	v_perm_b32 v1, v1, v12, 0xc0c0104
	v_lshlrev_b32_e32 v8, 16, v8
	v_and_b32_e32 v2, 0xffff, v2
	v_lshl_or_b32 v4, v6, 16, v4
	v_or_b32_e32 v3, v3, v7
	v_lshl_or_b32 v1, v9, 16, v1
	s_add_co_i32 s0, s0, -1
	v_or_b32_e32 v2, v2, v8
	s_cmp_lg_u32 s0, 0
	s_wait_loadcnt 0x0
	s_barrier_signal -1
	s_barrier_wait -1
	global_inv scope:SCOPE_SE
	s_cbranch_scc0 .LBB16_5
.LBB16_3:                               ; =>This Inner Loop Header: Depth=1
	v_lshrrev_b16 v12, 8, v1
	v_lshrrev_b32_e32 v9, 16, v1
	v_lshrrev_b32_e32 v14, 24, v1
	;; [unrolled: 1-line block ×5, first 2 shown]
	v_sub_nc_u16 v21, v9, v12
	v_sub_nc_u16 v20, v14, v9
	;; [unrolled: 1-line block ×3, first 2 shown]
	v_lshrrev_b32_e32 v13, 16, v2
	v_sub_nc_u16 v22, v1, v11
	v_lshrrev_b32_e32 v7, 16, v3
	v_lshlrev_b16 v25, 8, v20
	v_and_b32_e32 v20, 0xff, v21
	v_lshlrev_b16 v21, 8, v17
	v_lshrrev_b32_e32 v19, 8, v3
	v_and_b32_e32 v22, 0xff, v22
	v_sub_nc_u16 v26, v13, v16
	v_or_b32_e32 v17, v20, v25
	v_lshrrev_b32_e32 v20, 8, v4
	v_sub_nc_u16 v27, v16, v2
	v_lshrrev_b32_e32 v16, 24, v4
	v_and_b32_e32 v18, 0xff, v4
	v_lshrrev_b16 v8, 8, v4
	v_sub_nc_u16 v20, v20, v4
	v_lshrrev_b32_e32 v6, 16, v4
	v_lshrrev_b16 v10, 8, v3
	v_or_b32_e32 v22, v22, v21
	v_sub_nc_u16 v21, v11, v7
	v_sub_nc_u16 v19, v19, v3
	;; [unrolled: 1-line block ×3, first 2 shown]
	v_lshlrev_b16 v20, 8, v20
	v_lshrrev_b32_e32 v15, 24, v2
	v_lshlrev_b16 v28, 8, v21
	v_sub_nc_u16 v21, v7, v10
	v_lshlrev_b16 v19, 8, v19
	v_sub_nc_u16 v30, v16, v6
	v_sub_nc_u16 v31, v6, v8
	v_and_b32_e32 v29, 0xff, v29
	v_or_b32_e32 v18, v18, v20
	v_sub_nc_u16 v23, v15, v13
	v_sub_nc_u16 v24, v2, v14
	v_and_b32_e32 v20, 0xff, v21
	v_lshlrev_b16 v30, 8, v30
	v_and_b32_e32 v31, 0xff, v31
	v_or_b32_e32 v29, v29, v19
	v_and_b32_e32 v19, 0xffff, v18
	v_and_b32_e32 v32, 0xff, v24
	v_or_b32_e32 v21, v20, v28
	v_or_b32_e32 v24, v31, v30
	v_and_b32_e32 v20, 0xffff, v29
	v_lshrrev_b32_e32 v31, 8, v19
	v_lshlrev_b16 v23, 8, v23
	v_and_b32_e32 v26, 0xff, v26
	v_lshlrev_b16 v27, 8, v27
	v_and_b32_e32 v18, 0xff, v18
	v_lshlrev_b16 v31, 8, v31
	v_lshrrev_b32_e32 v33, 8, v20
	v_or_b32_e32 v23, v26, v23
	v_and_b32_e32 v26, 0xffff, v22
	v_lshrrev_b32_e32 v28, 8, v28
	v_or_b32_e32 v27, v32, v27
	v_or_b32_e32 v18, v18, v31
	v_lshrrev_b32_e32 v30, 8, v30
	v_lshlrev_b16 v32, 8, v33
	v_lshrrev_b32_e32 v33, 8, v26
	v_lshrrev_b32_e32 v25, 8, v25
	v_and_b32_e32 v31, 0xffff, v18
	v_and_b32_e32 v18, 0xff, v24
	v_lshlrev_b16 v30, 8, v30
	v_and_b32_e32 v29, 0xff, v29
	v_and_b32_e32 v34, 0xff, v21
	v_lshlrev_b16 v28, 8, v28
	v_and_b32_e32 v22, 0xff, v22
	v_lshlrev_b16 v33, 8, v33
	v_and_b32_e32 v35, 0xff, v17
	v_lshlrev_b16 v25, 8, v25
	v_or_b32_e32 v18, v18, v30
	v_or_b32_e32 v29, v29, v32
	;; [unrolled: 1-line block ×5, first 2 shown]
	v_and_b32_e32 v27, 0xffff, v27
	v_lshlrev_b32_e32 v23, 16, v23
	v_lshlrev_b32_e32 v30, 16, v18
	v_and_b32_e32 v29, 0xffff, v29
	v_lshlrev_b32_e32 v28, 16, v28
	v_and_b32_e32 v32, 0xffff, v22
	v_lshlrev_b32_e32 v25, 16, v25
	v_or_b32_e32 v18, v27, v23
	v_or_b32_e32 v22, v31, v30
	;; [unrolled: 1-line block ×3, first 2 shown]
	ds_store_b8 v0, v15
	v_or_b32_e32 v25, v32, v25
	s_wait_dscnt 0x0
	s_barrier_signal -1
	s_barrier_wait -1
	global_inv scope:SCOPE_SE
	s_and_saveexec_b32 s1, vcc_lo
	s_cbranch_execz .LBB16_2
; %bb.4:                                ;   in Loop: Header=BB16_3 Depth=1
	ds_load_u8 v22, v5
	v_lshlrev_b32_e32 v23, 16, v24
	v_lshlrev_b32_e32 v21, 16, v21
	;; [unrolled: 1-line block ×3, first 2 shown]
	s_delay_alu instid0(VALU_DEP_3) | instskip(NEXT) | instid1(VALU_DEP_3)
	v_or_b32_e32 v19, v19, v23
	v_or_b32_e32 v23, v20, v21
	s_delay_alu instid0(VALU_DEP_3) | instskip(SKIP_2) | instid1(VALU_DEP_1)
	v_or_b32_e32 v25, v26, v17
	s_wait_dscnt 0x0
	v_sub_nc_u16 v22, v4, v22
	v_perm_b32 v22, v22, v19, 0x3020104
	s_branch .LBB16_2
.LBB16_5:
	s_add_nc_u64 s[0:1], s[6:7], s[2:3]
	v_lshrrev_b32_e32 v7, 24, v4
	v_add_co_u32 v5, s0, s0, v0
	s_wait_alu 0xf1ff
	v_add_co_ci_u32_e64 v6, null, s1, 0, s0
	v_lshrrev_b32_e32 v0, 8, v4
	v_lshrrev_b32_e32 v8, 8, v3
	;; [unrolled: 1-line block ×3, first 2 shown]
	s_clause 0x7
	global_store_b8 v[5:6], v4, off
	global_store_b8 v[5:6], v0, off offset:256
	global_store_d16_hi_b8 v[5:6], v4, off offset:512
	global_store_b8 v[5:6], v7, off offset:768
	global_store_b8 v[5:6], v3, off offset:1024
	;; [unrolled: 1-line block ×3, first 2 shown]
	global_store_d16_hi_b8 v[5:6], v3, off offset:1536
	global_store_b8 v[5:6], v9, off offset:1792
	v_lshrrev_b32_e32 v0, 8, v1
	v_lshrrev_b32_e32 v3, 24, v1
	;; [unrolled: 1-line block ×4, first 2 shown]
	s_clause 0x7
	global_store_b8 v[5:6], v1, off offset:2048
	global_store_b8 v[5:6], v0, off offset:2304
	global_store_d16_hi_b8 v[5:6], v1, off offset:2560
	global_store_b8 v[5:6], v3, off offset:2816
	global_store_b8 v[5:6], v2, off offset:3072
	;; [unrolled: 1-line block ×3, first 2 shown]
	global_store_d16_hi_b8 v[5:6], v2, off offset:3584
	global_store_b8 v[5:6], v7, off offset:3840
	s_endpgm
	.section	.rodata,"a",@progbits
	.p2align	6, 0x0
	.amdhsa_kernel _Z6kernelI13subtract_leftLj256ELj16ELb0EJPaS1_jEEvDpT3_
		.amdhsa_group_segment_fixed_size 512
		.amdhsa_private_segment_fixed_size 0
		.amdhsa_kernarg_size 20
		.amdhsa_user_sgpr_count 2
		.amdhsa_user_sgpr_dispatch_ptr 0
		.amdhsa_user_sgpr_queue_ptr 0
		.amdhsa_user_sgpr_kernarg_segment_ptr 1
		.amdhsa_user_sgpr_dispatch_id 0
		.amdhsa_user_sgpr_private_segment_size 0
		.amdhsa_wavefront_size32 1
		.amdhsa_uses_dynamic_stack 0
		.amdhsa_enable_private_segment 0
		.amdhsa_system_sgpr_workgroup_id_x 1
		.amdhsa_system_sgpr_workgroup_id_y 0
		.amdhsa_system_sgpr_workgroup_id_z 0
		.amdhsa_system_sgpr_workgroup_info 0
		.amdhsa_system_vgpr_workitem_id 0
		.amdhsa_next_free_vgpr 36
		.amdhsa_next_free_sgpr 8
		.amdhsa_reserve_vcc 1
		.amdhsa_float_round_mode_32 0
		.amdhsa_float_round_mode_16_64 0
		.amdhsa_float_denorm_mode_32 3
		.amdhsa_float_denorm_mode_16_64 3
		.amdhsa_fp16_overflow 0
		.amdhsa_workgroup_processor_mode 1
		.amdhsa_memory_ordered 1
		.amdhsa_forward_progress 1
		.amdhsa_inst_pref_size 15
		.amdhsa_round_robin_scheduling 0
		.amdhsa_exception_fp_ieee_invalid_op 0
		.amdhsa_exception_fp_denorm_src 0
		.amdhsa_exception_fp_ieee_div_zero 0
		.amdhsa_exception_fp_ieee_overflow 0
		.amdhsa_exception_fp_ieee_underflow 0
		.amdhsa_exception_fp_ieee_inexact 0
		.amdhsa_exception_int_div_zero 0
	.end_amdhsa_kernel
	.section	.text._Z6kernelI13subtract_leftLj256ELj16ELb0EJPaS1_jEEvDpT3_,"axG",@progbits,_Z6kernelI13subtract_leftLj256ELj16ELb0EJPaS1_jEEvDpT3_,comdat
.Lfunc_end16:
	.size	_Z6kernelI13subtract_leftLj256ELj16ELb0EJPaS1_jEEvDpT3_, .Lfunc_end16-_Z6kernelI13subtract_leftLj256ELj16ELb0EJPaS1_jEEvDpT3_
                                        ; -- End function
	.set _Z6kernelI13subtract_leftLj256ELj16ELb0EJPaS1_jEEvDpT3_.num_vgpr, 36
	.set _Z6kernelI13subtract_leftLj256ELj16ELb0EJPaS1_jEEvDpT3_.num_agpr, 0
	.set _Z6kernelI13subtract_leftLj256ELj16ELb0EJPaS1_jEEvDpT3_.numbered_sgpr, 8
	.set _Z6kernelI13subtract_leftLj256ELj16ELb0EJPaS1_jEEvDpT3_.num_named_barrier, 0
	.set _Z6kernelI13subtract_leftLj256ELj16ELb0EJPaS1_jEEvDpT3_.private_seg_size, 0
	.set _Z6kernelI13subtract_leftLj256ELj16ELb0EJPaS1_jEEvDpT3_.uses_vcc, 1
	.set _Z6kernelI13subtract_leftLj256ELj16ELb0EJPaS1_jEEvDpT3_.uses_flat_scratch, 0
	.set _Z6kernelI13subtract_leftLj256ELj16ELb0EJPaS1_jEEvDpT3_.has_dyn_sized_stack, 0
	.set _Z6kernelI13subtract_leftLj256ELj16ELb0EJPaS1_jEEvDpT3_.has_recursion, 0
	.set _Z6kernelI13subtract_leftLj256ELj16ELb0EJPaS1_jEEvDpT3_.has_indirect_call, 0
	.section	.AMDGPU.csdata,"",@progbits
; Kernel info:
; codeLenInByte = 1860
; TotalNumSgprs: 10
; NumVgprs: 36
; ScratchSize: 0
; MemoryBound: 0
; FloatMode: 240
; IeeeMode: 1
; LDSByteSize: 512 bytes/workgroup (compile time only)
; SGPRBlocks: 0
; VGPRBlocks: 4
; NumSGPRsForWavesPerEU: 10
; NumVGPRsForWavesPerEU: 36
; Occupancy: 16
; WaveLimiterHint : 1
; COMPUTE_PGM_RSRC2:SCRATCH_EN: 0
; COMPUTE_PGM_RSRC2:USER_SGPR: 2
; COMPUTE_PGM_RSRC2:TRAP_HANDLER: 0
; COMPUTE_PGM_RSRC2:TGID_X_EN: 1
; COMPUTE_PGM_RSRC2:TGID_Y_EN: 0
; COMPUTE_PGM_RSRC2:TGID_Z_EN: 0
; COMPUTE_PGM_RSRC2:TIDIG_COMP_CNT: 0
	.section	.text._Z6kernelI13subtract_leftLj256ELj32ELb0EJPaS1_jEEvDpT3_,"axG",@progbits,_Z6kernelI13subtract_leftLj256ELj32ELb0EJPaS1_jEEvDpT3_,comdat
	.protected	_Z6kernelI13subtract_leftLj256ELj32ELb0EJPaS1_jEEvDpT3_ ; -- Begin function _Z6kernelI13subtract_leftLj256ELj32ELb0EJPaS1_jEEvDpT3_
	.globl	_Z6kernelI13subtract_leftLj256ELj32ELb0EJPaS1_jEEvDpT3_
	.p2align	8
	.type	_Z6kernelI13subtract_leftLj256ELj32ELb0EJPaS1_jEEvDpT3_,@function
_Z6kernelI13subtract_leftLj256ELj32ELb0EJPaS1_jEEvDpT3_: ; @_Z6kernelI13subtract_leftLj256ELj32ELb0EJPaS1_jEEvDpT3_
; %bb.0:
	s_load_b128 s[4:7], s[0:1], 0x0
	s_lshl_b32 s2, ttmp9, 13
	s_mov_b32 s3, 0
	s_load_b32 s0, s[0:1], 0x10
	s_wait_kmcnt 0x0
	s_add_nc_u64 s[4:5], s[4:5], s[2:3]
	s_clause 0x1f
	global_load_u8 v1, v0, s[4:5] offset:256
	global_load_u8 v2, v0, s[4:5] offset:768
	global_load_u8 v3, v0, s[4:5] offset:1280
	global_load_u8 v4, v0, s[4:5] offset:1792
	global_load_u8 v5, v0, s[4:5] offset:1536
	global_load_u8 v6, v0, s[4:5] offset:1024
	global_load_u8 v7, v0, s[4:5] offset:512
	global_load_u8 v8, v0, s[4:5]
	global_load_u8 v9, v0, s[4:5] offset:2304
	global_load_u8 v10, v0, s[4:5] offset:2816
	;; [unrolled: 1-line block ×24, first 2 shown]
	s_cmp_eq_u32 s0, 0
	s_wait_loadcnt 0x1b
	v_perm_b32 v4, v5, v4, 0xc0c0004
	s_wait_loadcnt 0x1a
	v_perm_b32 v3, v6, v3, 0xc0c0004
	;; [unrolled: 2-line block ×4, first 2 shown]
	v_lshl_or_b32 v8, v4, 16, v3
	s_delay_alu instid0(VALU_DEP_2)
	v_lshl_or_b32 v7, v2, 16, v1
	s_wait_loadcnt 0x11
	v_perm_b32 v6, v15, v10, 0xc0c0004
	s_wait_loadcnt 0x10
	v_perm_b32 v5, v16, v9, 0xc0c0004
	v_perm_b32 v9, v14, v11, 0xc0c0004
	;; [unrolled: 1-line block ×3, first 2 shown]
	s_wait_loadcnt 0xb
	v_perm_b32 v14, v21, v20, 0xc0c0004
	s_wait_loadcnt 0xa
	v_perm_b32 v13, v22, v19, 0xc0c0004
	s_wait_loadcnt 0x9
	v_perm_b32 v12, v23, v18, 0xc0c0004
	s_wait_loadcnt 0x8
	v_perm_b32 v11, v24, v17, 0xc0c0004
	v_lshl_or_b32 v5, v6, 16, v5
	v_lshl_or_b32 v6, v10, 16, v9
	;; [unrolled: 1-line block ×3, first 2 shown]
	s_wait_loadcnt 0x3
	v_perm_b32 v15, v29, v25, 0xc0c0004
	s_wait_loadcnt 0x2
	v_perm_b32 v16, v28, v30, 0xc0c0004
	;; [unrolled: 2-line block ×4, first 2 shown]
	v_lshl_or_b32 v3, v12, 16, v11
	v_lshl_or_b32 v1, v16, 16, v15
	s_delay_alu instid0(VALU_DEP_3)
	v_lshl_or_b32 v2, v18, 16, v17
	s_cbranch_scc1 .LBB17_5
; %bb.1:
	v_add_nc_u32_e32 v9, -1, v0
	v_cmp_ne_u32_e32 vcc_lo, 0, v0
	s_branch .LBB17_3
.LBB17_2:                               ;   in Loop: Header=BB17_3 Depth=1
	s_or_b32 exec_lo, exec_lo, s1
	v_lshrrev_b64 v[12:13], 24, v[7:8]
	v_lshrrev_b64 v[13:14], 24, v[1:2]
	;; [unrolled: 1-line block ×4, first 2 shown]
	v_lshrrev_b32_e32 v33, 24, v8
	v_lshrrev_b32_e32 v34, 16, v7
	v_lshlrev_b16 v16, 1, v12
	v_lshrrev_b32_e32 v17, 8, v8
	v_lshrrev_b32_e32 v18, 16, v8
	v_lshlrev_b16 v36, 1, v8
	v_lshlrev_b16 v38, 1, v34
	v_sub_nc_u16 v16, v16, v34
	v_lshlrev_b16 v34, 1, v33
	v_lshrrev_b32_e32 v35, 8, v7
	v_sub_nc_u16 v12, v36, v12
	v_lshlrev_b16 v36, 1, v17
	v_lshrrev_b32_e32 v30, 24, v6
	;; [unrolled: 3-line block ×3, first 2 shown]
	v_lshrrev_b32_e32 v32, 8, v5
	v_lshlrev_b16 v37, 1, v35
	v_sub_nc_u16 v8, v36, v8
	v_lshlrev_b16 v36, 1, v5
	v_sub_nc_u16 v17, v18, v17
	v_lshlrev_b16 v18, 1, v15
	v_lshrrev_b32_e32 v19, 8, v6
	v_lshrrev_b32_e32 v20, 16, v6
	v_add_nc_u16 v11, v11, v7
	v_sub_nc_u16 v35, v38, v35
	v_sub_nc_u16 v7, v37, v7
	;; [unrolled: 1-line block ×3, first 2 shown]
	v_lshlrev_b16 v36, 1, v6
	v_lshlrev_b16 v37, 1, v31
	v_sub_nc_u16 v18, v18, v31
	v_lshlrev_b16 v31, 1, v32
	v_lshlrev_b16 v38, 1, v30
	v_sub_nc_u16 v15, v36, v15
	v_sub_nc_u16 v32, v37, v32
	v_lshlrev_b16 v36, 1, v19
	v_sub_nc_u16 v5, v31, v5
	v_sub_nc_u16 v37, v38, v20
	v_lshlrev_b16 v31, 1, v3
	v_lshrrev_b32_e32 v27, 24, v4
	v_lshrrev_b32_e32 v28, 16, v3
	v_lshlrev_b16 v7, 8, v7
	v_lshlrev_b16 v20, 1, v20
	v_sub_nc_u16 v6, v36, v6
	v_lshlrev_b16 v36, 8, v37
	v_sub_nc_u16 v30, v31, v30
	v_lshlrev_b16 v31, 1, v14
	v_lshrrev_b32_e32 v22, 16, v4
	v_lshlrev_b16 v8, 8, v8
	v_sub_nc_u16 v19, v20, v19
	v_lshrrev_b32_e32 v20, 8, v36
	v_lshlrev_b16 v36, 1, v4
	v_lshlrev_b16 v37, 1, v28
	v_sub_nc_u16 v28, v31, v28
	v_lshlrev_b16 v31, 1, v27
	v_lshrrev_b32_e32 v7, 8, v7
	v_lshrrev_b32_e32 v21, 8, v4
	;; [unrolled: 1-line block ×3, first 2 shown]
	v_lshlrev_b16 v34, 8, v34
	v_lshrrev_b32_e32 v8, 8, v8
	v_sub_nc_u16 v14, v36, v14
	v_lshlrev_b16 v36, 1, v1
	v_sub_nc_u16 v31, v31, v22
	v_lshlrev_b16 v22, 1, v22
	v_and_b32_e32 v11, 0xff, v11
	v_lshlrev_b16 v7, 8, v7
	v_lshrrev_b32_e32 v25, 16, v1
	v_lshrrev_b32_e32 v26, 8, v1
	v_lshlrev_b16 v16, 8, v16
	v_lshrrev_b32_e32 v34, 8, v34
	v_lshlrev_b16 v5, 8, v5
	v_lshlrev_b16 v6, 8, v6
	;; [unrolled: 1-line block ×3, first 2 shown]
	v_sub_nc_u16 v29, v37, v29
	v_lshlrev_b16 v37, 1, v21
	v_sub_nc_u16 v27, v36, v27
	v_lshlrev_b16 v36, 1, v2
	;; [unrolled: 2-line block ×3, first 2 shown]
	v_or_b32_e32 v7, v11, v7
	v_and_b32_e32 v11, 0xff, v12
	v_lshlrev_b16 v8, 8, v8
	v_lshrrev_b32_e32 v6, 8, v6
	v_sub_nc_u16 v3, v38, v3
	v_sub_nc_u16 v4, v37, v4
	;; [unrolled: 1-line block ×3, first 2 shown]
	v_lshlrev_b16 v36, 1, v25
	v_sub_nc_u16 v22, v22, v25
	v_lshlrev_b16 v25, 1, v26
	v_perm_b32 v12, v35, v16, 0xc0c0104
	v_and_b32_e32 v7, 0xffff, v7
	v_lshrrev_b32_e32 v5, 8, v5
	v_or_b32_e32 v8, v11, v8
	v_and_b32_e32 v11, 0xff, v17
	v_lshlrev_b16 v16, 8, v34
	v_lshrrev_b32_e32 v23, 8, v2
	v_lshrrev_b32_e32 v24, 16, v2
	v_lshlrev_b16 v3, 8, v3
	v_lshlrev_b16 v4, 8, v4
	v_sub_nc_u16 v1, v25, v1
	v_and_b32_e32 v17, 0xff, v33
	v_lshlrev_b16 v5, 8, v5
	v_lshl_or_b32 v7, v12, 16, v7
	v_or_b32_e32 v11, v11, v16
	v_and_b32_e32 v12, 0xff, v15
	v_lshlrev_b16 v6, 8, v6
	v_lshlrev_b16 v18, 8, v18
	;; [unrolled: 1-line block ×3, first 2 shown]
	v_lshrrev_b32_e32 v4, 8, v4
	v_sub_nc_u16 v26, v36, v26
	v_lshlrev_b16 v25, 1, v23
	v_lshlrev_b16 v36, 1, v24
	;; [unrolled: 1-line block ×4, first 2 shown]
	v_and_b32_e32 v8, 0xffff, v8
	v_or_b32_e32 v5, v17, v5
	v_lshlrev_b32_e32 v11, 16, v11
	v_lshrrev_b32_e32 v3, 8, v3
	v_or_b32_e32 v6, v12, v6
	v_and_b32_e32 v12, 0xff, v19
	v_lshlrev_b16 v16, 8, v20
	v_lshrrev_b32_e32 v31, 8, v31
	v_sub_nc_u16 v2, v25, v2
	v_sub_nc_u16 v23, v36, v23
	;; [unrolled: 1-line block ×3, first 2 shown]
	v_perm_b32 v15, v32, v18, 0xc0c0104
	v_and_b32_e32 v5, 0xffff, v5
	v_and_b32_e32 v17, 0xff, v30
	v_lshlrev_b16 v3, 8, v3
	v_or_b32_e32 v8, v8, v11
	v_or_b32_e32 v11, v12, v16
	v_and_b32_e32 v12, 0xff, v14
	v_lshlrev_b16 v4, 8, v4
	v_lshrrev_b32_e32 v1, 8, v1
	v_and_b32_e32 v13, 0xff, v13
	v_lshl_or_b32 v5, v15, 16, v5
	v_or_b32_e32 v3, v17, v3
	v_or_b32_e32 v4, v12, v4
	v_and_b32_e32 v12, 0xff, v21
	v_lshlrev_b16 v15, 8, v31
	v_and_b32_e32 v16, 0xff, v27
	v_lshlrev_b16 v1, 8, v1
	v_lshlrev_b16 v2, 8, v2
	v_lshlrev_b16 v10, 8, v10
	v_and_b32_e32 v17, 0xff, v23
	v_lshlrev_b16 v28, 8, v28
	v_lshlrev_b16 v22, 8, v22
	v_or_b32_e32 v12, v12, v15
	v_or_b32_e32 v1, v16, v1
	;; [unrolled: 1-line block ×4, first 2 shown]
	v_and_b32_e32 v6, 0xffff, v6
	v_lshlrev_b32_e32 v11, 16, v11
	v_perm_b32 v14, v29, v28, 0xc0c0104
	v_and_b32_e32 v3, 0xffff, v3
	v_and_b32_e32 v4, 0xffff, v4
	v_lshlrev_b32_e32 v12, 16, v12
	v_perm_b32 v13, v26, v22, 0xc0c0104
	v_and_b32_e32 v1, 0xffff, v1
	v_and_b32_e32 v2, 0xffff, v2
	v_lshlrev_b32_e32 v10, 16, v10
	v_or_b32_e32 v6, v6, v11
	v_lshl_or_b32 v3, v14, 16, v3
	v_or_b32_e32 v4, v4, v12
	v_lshl_or_b32 v1, v13, 16, v1
	v_or_b32_e32 v2, v2, v10
	s_add_co_i32 s0, s0, -1
	s_wait_loadcnt 0x0
	s_cmp_lg_u32 s0, 0
	s_barrier_signal -1
	s_barrier_wait -1
	global_inv scope:SCOPE_SE
	s_cbranch_scc0 .LBB17_5
.LBB17_3:                               ; =>This Inner Loop Header: Depth=1
	v_lshrrev_b32_e32 v10, 24, v2
	v_mov_b32_e32 v11, v7
	ds_store_b8 v0, v10
	s_wait_dscnt 0x0
	s_barrier_signal -1
	s_barrier_wait -1
	global_inv scope:SCOPE_SE
	s_and_saveexec_b32 s1, vcc_lo
	s_cbranch_execz .LBB17_2
; %bb.4:                                ;   in Loop: Header=BB17_3 Depth=1
	ds_load_u8 v11, v9
	s_wait_dscnt 0x0
	v_sub_nc_u16 v11, v7, v11
	s_branch .LBB17_2
.LBB17_5:
	s_add_nc_u64 s[0:1], s[6:7], s[2:3]
	v_lshrrev_b32_e32 v11, 24, v7
	v_add_co_u32 v9, s0, s0, v0
	s_wait_alu 0xf1ff
	v_add_co_ci_u32_e64 v10, null, s1, 0, s0
	v_lshrrev_b32_e32 v0, 8, v7
	v_lshrrev_b32_e32 v12, 8, v8
	;; [unrolled: 1-line block ×3, first 2 shown]
	s_clause 0x7
	global_store_b8 v[9:10], v7, off
	global_store_b8 v[9:10], v0, off offset:256
	global_store_d16_hi_b8 v[9:10], v7, off offset:512
	global_store_b8 v[9:10], v11, off offset:768
	global_store_b8 v[9:10], v8, off offset:1024
	global_store_b8 v[9:10], v12, off offset:1280
	global_store_d16_hi_b8 v[9:10], v8, off offset:1536
	global_store_b8 v[9:10], v13, off offset:1792
	v_lshrrev_b32_e32 v0, 8, v5
	v_lshrrev_b32_e32 v7, 24, v5
	v_lshrrev_b32_e32 v8, 8, v6
	v_lshrrev_b32_e32 v11, 24, v6
	s_clause 0x7
	global_store_b8 v[9:10], v5, off offset:2048
	global_store_b8 v[9:10], v0, off offset:2304
	global_store_d16_hi_b8 v[9:10], v5, off offset:2560
	global_store_b8 v[9:10], v7, off offset:2816
	global_store_b8 v[9:10], v6, off offset:3072
	global_store_b8 v[9:10], v8, off offset:3328
	global_store_d16_hi_b8 v[9:10], v6, off offset:3584
	global_store_b8 v[9:10], v11, off offset:3840
	v_lshrrev_b32_e32 v0, 8, v3
	v_lshrrev_b32_e32 v5, 24, v3
	v_lshrrev_b32_e32 v6, 8, v4
	v_lshrrev_b32_e32 v7, 24, v4
	s_clause 0x7
	global_store_b8 v[9:10], v3, off offset:4096
	;; [unrolled: 13-line block ×3, first 2 shown]
	global_store_b8 v[9:10], v0, off offset:6400
	global_store_d16_hi_b8 v[9:10], v1, off offset:6656
	global_store_b8 v[9:10], v3, off offset:6912
	global_store_b8 v[9:10], v2, off offset:7168
	;; [unrolled: 1-line block ×3, first 2 shown]
	global_store_d16_hi_b8 v[9:10], v2, off offset:7680
	global_store_b8 v[9:10], v5, off offset:7936
	s_endpgm
	.section	.rodata,"a",@progbits
	.p2align	6, 0x0
	.amdhsa_kernel _Z6kernelI13subtract_leftLj256ELj32ELb0EJPaS1_jEEvDpT3_
		.amdhsa_group_segment_fixed_size 512
		.amdhsa_private_segment_fixed_size 0
		.amdhsa_kernarg_size 20
		.amdhsa_user_sgpr_count 2
		.amdhsa_user_sgpr_dispatch_ptr 0
		.amdhsa_user_sgpr_queue_ptr 0
		.amdhsa_user_sgpr_kernarg_segment_ptr 1
		.amdhsa_user_sgpr_dispatch_id 0
		.amdhsa_user_sgpr_private_segment_size 0
		.amdhsa_wavefront_size32 1
		.amdhsa_uses_dynamic_stack 0
		.amdhsa_enable_private_segment 0
		.amdhsa_system_sgpr_workgroup_id_x 1
		.amdhsa_system_sgpr_workgroup_id_y 0
		.amdhsa_system_sgpr_workgroup_id_z 0
		.amdhsa_system_sgpr_workgroup_info 0
		.amdhsa_system_vgpr_workitem_id 0
		.amdhsa_next_free_vgpr 39
		.amdhsa_next_free_sgpr 8
		.amdhsa_reserve_vcc 1
		.amdhsa_float_round_mode_32 0
		.amdhsa_float_round_mode_16_64 0
		.amdhsa_float_denorm_mode_32 3
		.amdhsa_float_denorm_mode_16_64 3
		.amdhsa_fp16_overflow 0
		.amdhsa_workgroup_processor_mode 1
		.amdhsa_memory_ordered 1
		.amdhsa_forward_progress 1
		.amdhsa_inst_pref_size 20
		.amdhsa_round_robin_scheduling 0
		.amdhsa_exception_fp_ieee_invalid_op 0
		.amdhsa_exception_fp_denorm_src 0
		.amdhsa_exception_fp_ieee_div_zero 0
		.amdhsa_exception_fp_ieee_overflow 0
		.amdhsa_exception_fp_ieee_underflow 0
		.amdhsa_exception_fp_ieee_inexact 0
		.amdhsa_exception_int_div_zero 0
	.end_amdhsa_kernel
	.section	.text._Z6kernelI13subtract_leftLj256ELj32ELb0EJPaS1_jEEvDpT3_,"axG",@progbits,_Z6kernelI13subtract_leftLj256ELj32ELb0EJPaS1_jEEvDpT3_,comdat
.Lfunc_end17:
	.size	_Z6kernelI13subtract_leftLj256ELj32ELb0EJPaS1_jEEvDpT3_, .Lfunc_end17-_Z6kernelI13subtract_leftLj256ELj32ELb0EJPaS1_jEEvDpT3_
                                        ; -- End function
	.set _Z6kernelI13subtract_leftLj256ELj32ELb0EJPaS1_jEEvDpT3_.num_vgpr, 39
	.set _Z6kernelI13subtract_leftLj256ELj32ELb0EJPaS1_jEEvDpT3_.num_agpr, 0
	.set _Z6kernelI13subtract_leftLj256ELj32ELb0EJPaS1_jEEvDpT3_.numbered_sgpr, 8
	.set _Z6kernelI13subtract_leftLj256ELj32ELb0EJPaS1_jEEvDpT3_.num_named_barrier, 0
	.set _Z6kernelI13subtract_leftLj256ELj32ELb0EJPaS1_jEEvDpT3_.private_seg_size, 0
	.set _Z6kernelI13subtract_leftLj256ELj32ELb0EJPaS1_jEEvDpT3_.uses_vcc, 1
	.set _Z6kernelI13subtract_leftLj256ELj32ELb0EJPaS1_jEEvDpT3_.uses_flat_scratch, 0
	.set _Z6kernelI13subtract_leftLj256ELj32ELb0EJPaS1_jEEvDpT3_.has_dyn_sized_stack, 0
	.set _Z6kernelI13subtract_leftLj256ELj32ELb0EJPaS1_jEEvDpT3_.has_recursion, 0
	.set _Z6kernelI13subtract_leftLj256ELj32ELb0EJPaS1_jEEvDpT3_.has_indirect_call, 0
	.section	.AMDGPU.csdata,"",@progbits
; Kernel info:
; codeLenInByte = 2544
; TotalNumSgprs: 10
; NumVgprs: 39
; ScratchSize: 0
; MemoryBound: 0
; FloatMode: 240
; IeeeMode: 1
; LDSByteSize: 512 bytes/workgroup (compile time only)
; SGPRBlocks: 0
; VGPRBlocks: 4
; NumSGPRsForWavesPerEU: 10
; NumVGPRsForWavesPerEU: 39
; Occupancy: 16
; WaveLimiterHint : 1
; COMPUTE_PGM_RSRC2:SCRATCH_EN: 0
; COMPUTE_PGM_RSRC2:USER_SGPR: 2
; COMPUTE_PGM_RSRC2:TRAP_HANDLER: 0
; COMPUTE_PGM_RSRC2:TGID_X_EN: 1
; COMPUTE_PGM_RSRC2:TGID_Y_EN: 0
; COMPUTE_PGM_RSRC2:TGID_Z_EN: 0
; COMPUTE_PGM_RSRC2:TIDIG_COMP_CNT: 0
	.section	.text._Z6kernelI13subtract_leftLj256ELj1ELb0EJPxS1_jEEvDpT3_,"axG",@progbits,_Z6kernelI13subtract_leftLj256ELj1ELb0EJPxS1_jEEvDpT3_,comdat
	.protected	_Z6kernelI13subtract_leftLj256ELj1ELb0EJPxS1_jEEvDpT3_ ; -- Begin function _Z6kernelI13subtract_leftLj256ELj1ELb0EJPxS1_jEEvDpT3_
	.globl	_Z6kernelI13subtract_leftLj256ELj1ELb0EJPxS1_jEEvDpT3_
	.p2align	8
	.type	_Z6kernelI13subtract_leftLj256ELj1ELb0EJPxS1_jEEvDpT3_,@function
_Z6kernelI13subtract_leftLj256ELj1ELb0EJPxS1_jEEvDpT3_: ; @_Z6kernelI13subtract_leftLj256ELj1ELb0EJPxS1_jEEvDpT3_
; %bb.0:
	s_load_b128 s[4:7], s[0:1], 0x0
	s_lshl_b32 s2, ttmp9, 8
	s_mov_b32 s3, 0
	v_lshlrev_b32_e32 v5, 3, v0
	s_lshl_b64 s[2:3], s[2:3], 3
	s_load_b32 s1, s[0:1], 0x10
	s_wait_kmcnt 0x0
	s_add_nc_u64 s[4:5], s[4:5], s[2:3]
	global_load_b64 v[1:2], v5, s[4:5]
	s_cmp_eq_u32 s1, 0
	s_cbranch_scc1 .LBB18_5
; %bb.1:
	v_cmp_ne_u32_e32 vcc_lo, 0, v0
	v_add_nc_u32_e32 v0, -8, v5
	s_branch .LBB18_3
.LBB18_2:                               ;   in Loop: Header=BB18_3 Depth=1
	s_or_b32 exec_lo, exec_lo, s4
	v_add_co_u32 v1, s0, v3, v1
	s_wait_alu 0xf1ff
	v_add_co_ci_u32_e64 v2, null, v4, v2, s0
	s_add_co_i32 s1, s1, -1
	s_wait_loadcnt 0x0
	s_wait_alu 0xfffe
	s_cmp_lg_u32 s1, 0
	s_barrier_signal -1
	s_barrier_wait -1
	global_inv scope:SCOPE_SE
	s_cbranch_scc0 .LBB18_5
.LBB18_3:                               ; =>This Inner Loop Header: Depth=1
	s_wait_loadcnt 0x0
	v_dual_mov_b32 v4, v2 :: v_dual_mov_b32 v3, v1
	ds_store_b64 v5, v[1:2]
	s_wait_dscnt 0x0
	s_barrier_signal -1
	s_barrier_wait -1
	global_inv scope:SCOPE_SE
	s_and_saveexec_b32 s4, vcc_lo
	s_cbranch_execz .LBB18_2
; %bb.4:                                ;   in Loop: Header=BB18_3 Depth=1
	ds_load_b64 v[3:4], v0
	s_wait_dscnt 0x0
	v_sub_co_u32 v3, s0, v1, v3
	s_wait_alu 0xf1ff
	v_sub_co_ci_u32_e64 v4, null, v2, v4, s0
	s_branch .LBB18_2
.LBB18_5:
	s_add_nc_u64 s[0:1], s[6:7], s[2:3]
	s_wait_loadcnt 0x0
	global_store_b64 v5, v[1:2], s[0:1]
	s_endpgm
	.section	.rodata,"a",@progbits
	.p2align	6, 0x0
	.amdhsa_kernel _Z6kernelI13subtract_leftLj256ELj1ELb0EJPxS1_jEEvDpT3_
		.amdhsa_group_segment_fixed_size 4096
		.amdhsa_private_segment_fixed_size 0
		.amdhsa_kernarg_size 20
		.amdhsa_user_sgpr_count 2
		.amdhsa_user_sgpr_dispatch_ptr 0
		.amdhsa_user_sgpr_queue_ptr 0
		.amdhsa_user_sgpr_kernarg_segment_ptr 1
		.amdhsa_user_sgpr_dispatch_id 0
		.amdhsa_user_sgpr_private_segment_size 0
		.amdhsa_wavefront_size32 1
		.amdhsa_uses_dynamic_stack 0
		.amdhsa_enable_private_segment 0
		.amdhsa_system_sgpr_workgroup_id_x 1
		.amdhsa_system_sgpr_workgroup_id_y 0
		.amdhsa_system_sgpr_workgroup_id_z 0
		.amdhsa_system_sgpr_workgroup_info 0
		.amdhsa_system_vgpr_workitem_id 0
		.amdhsa_next_free_vgpr 6
		.amdhsa_next_free_sgpr 8
		.amdhsa_reserve_vcc 1
		.amdhsa_float_round_mode_32 0
		.amdhsa_float_round_mode_16_64 0
		.amdhsa_float_denorm_mode_32 3
		.amdhsa_float_denorm_mode_16_64 3
		.amdhsa_fp16_overflow 0
		.amdhsa_workgroup_processor_mode 1
		.amdhsa_memory_ordered 1
		.amdhsa_forward_progress 1
		.amdhsa_inst_pref_size 2
		.amdhsa_round_robin_scheduling 0
		.amdhsa_exception_fp_ieee_invalid_op 0
		.amdhsa_exception_fp_denorm_src 0
		.amdhsa_exception_fp_ieee_div_zero 0
		.amdhsa_exception_fp_ieee_overflow 0
		.amdhsa_exception_fp_ieee_underflow 0
		.amdhsa_exception_fp_ieee_inexact 0
		.amdhsa_exception_int_div_zero 0
	.end_amdhsa_kernel
	.section	.text._Z6kernelI13subtract_leftLj256ELj1ELb0EJPxS1_jEEvDpT3_,"axG",@progbits,_Z6kernelI13subtract_leftLj256ELj1ELb0EJPxS1_jEEvDpT3_,comdat
.Lfunc_end18:
	.size	_Z6kernelI13subtract_leftLj256ELj1ELb0EJPxS1_jEEvDpT3_, .Lfunc_end18-_Z6kernelI13subtract_leftLj256ELj1ELb0EJPxS1_jEEvDpT3_
                                        ; -- End function
	.set _Z6kernelI13subtract_leftLj256ELj1ELb0EJPxS1_jEEvDpT3_.num_vgpr, 6
	.set _Z6kernelI13subtract_leftLj256ELj1ELb0EJPxS1_jEEvDpT3_.num_agpr, 0
	.set _Z6kernelI13subtract_leftLj256ELj1ELb0EJPxS1_jEEvDpT3_.numbered_sgpr, 8
	.set _Z6kernelI13subtract_leftLj256ELj1ELb0EJPxS1_jEEvDpT3_.num_named_barrier, 0
	.set _Z6kernelI13subtract_leftLj256ELj1ELb0EJPxS1_jEEvDpT3_.private_seg_size, 0
	.set _Z6kernelI13subtract_leftLj256ELj1ELb0EJPxS1_jEEvDpT3_.uses_vcc, 1
	.set _Z6kernelI13subtract_leftLj256ELj1ELb0EJPxS1_jEEvDpT3_.uses_flat_scratch, 0
	.set _Z6kernelI13subtract_leftLj256ELj1ELb0EJPxS1_jEEvDpT3_.has_dyn_sized_stack, 0
	.set _Z6kernelI13subtract_leftLj256ELj1ELb0EJPxS1_jEEvDpT3_.has_recursion, 0
	.set _Z6kernelI13subtract_leftLj256ELj1ELb0EJPxS1_jEEvDpT3_.has_indirect_call, 0
	.section	.AMDGPU.csdata,"",@progbits
; Kernel info:
; codeLenInByte = 248
; TotalNumSgprs: 10
; NumVgprs: 6
; ScratchSize: 0
; MemoryBound: 0
; FloatMode: 240
; IeeeMode: 1
; LDSByteSize: 4096 bytes/workgroup (compile time only)
; SGPRBlocks: 0
; VGPRBlocks: 0
; NumSGPRsForWavesPerEU: 10
; NumVGPRsForWavesPerEU: 6
; Occupancy: 16
; WaveLimiterHint : 0
; COMPUTE_PGM_RSRC2:SCRATCH_EN: 0
; COMPUTE_PGM_RSRC2:USER_SGPR: 2
; COMPUTE_PGM_RSRC2:TRAP_HANDLER: 0
; COMPUTE_PGM_RSRC2:TGID_X_EN: 1
; COMPUTE_PGM_RSRC2:TGID_Y_EN: 0
; COMPUTE_PGM_RSRC2:TGID_Z_EN: 0
; COMPUTE_PGM_RSRC2:TIDIG_COMP_CNT: 0
	.section	.text._Z6kernelI13subtract_leftLj256ELj3ELb0EJPxS1_jEEvDpT3_,"axG",@progbits,_Z6kernelI13subtract_leftLj256ELj3ELb0EJPxS1_jEEvDpT3_,comdat
	.protected	_Z6kernelI13subtract_leftLj256ELj3ELb0EJPxS1_jEEvDpT3_ ; -- Begin function _Z6kernelI13subtract_leftLj256ELj3ELb0EJPxS1_jEEvDpT3_
	.globl	_Z6kernelI13subtract_leftLj256ELj3ELb0EJPxS1_jEEvDpT3_
	.p2align	8
	.type	_Z6kernelI13subtract_leftLj256ELj3ELb0EJPxS1_jEEvDpT3_,@function
_Z6kernelI13subtract_leftLj256ELj3ELb0EJPxS1_jEEvDpT3_: ; @_Z6kernelI13subtract_leftLj256ELj3ELb0EJPxS1_jEEvDpT3_
; %bb.0:
	s_load_b128 s[4:7], s[0:1], 0x0
	s_mul_i32 s2, ttmp9, 0x300
	s_mov_b32 s3, 0
	v_lshlrev_b32_e32 v11, 3, v0
	s_lshl_b64 s[2:3], s[2:3], 3
	s_load_b32 s1, s[0:1], 0x10
	s_wait_kmcnt 0x0
	s_add_nc_u64 s[4:5], s[4:5], s[2:3]
	s_clause 0x2
	global_load_b64 v[3:4], v11, s[4:5]
	global_load_b64 v[5:6], v11, s[4:5] offset:2048
	global_load_b64 v[1:2], v11, s[4:5] offset:4096
	s_cmp_eq_u32 s1, 0
	s_cbranch_scc1 .LBB19_6
; %bb.1:
	v_cmp_ne_u32_e32 vcc_lo, 0, v0
	v_add_nc_u32_e32 v0, -8, v11
.LBB19_2:                               ; =>This Inner Loop Header: Depth=1
	s_wait_loadcnt 0x2
	s_delay_alu instid0(VALU_DEP_2)
	v_dual_mov_b32 v8, v4 :: v_dual_mov_b32 v7, v3
	s_wait_loadcnt 0x0
	ds_store_b64 v11, v[1:2]
	s_wait_dscnt 0x0
	s_barrier_signal -1
	s_barrier_wait -1
	global_inv scope:SCOPE_SE
	s_and_saveexec_b32 s4, vcc_lo
	s_cbranch_execz .LBB19_4
; %bb.3:                                ;   in Loop: Header=BB19_2 Depth=1
	ds_load_b64 v[7:8], v0
	s_wait_dscnt 0x0
	v_sub_co_u32 v7, s0, v3, v7
	s_wait_alu 0xf1ff
	v_sub_co_ci_u32_e64 v8, null, v4, v8, s0
.LBB19_4:                               ;   in Loop: Header=BB19_2 Depth=1
	s_or_b32 exec_lo, exec_lo, s4
	v_lshlrev_b64_e32 v[9:10], 1, v[5:6]
	v_lshlrev_b64_e32 v[1:2], 1, v[1:2]
	v_add_co_u32 v7, s0, v7, v3
	s_wait_alu 0xf1ff
	v_add_co_ci_u32_e64 v8, null, v8, v4, s0
	s_delay_alu instid0(VALU_DEP_4)
	v_sub_co_u32 v9, s0, v9, v3
	s_wait_alu 0xf1ff
	v_sub_co_ci_u32_e64 v10, null, v10, v4, s0
	v_sub_co_u32 v1, s0, v1, v5
	s_wait_alu 0xf1ff
	v_sub_co_ci_u32_e64 v2, null, v2, v6, s0
	s_add_co_i32 s1, s1, -1
	s_wait_loadcnt 0x0
	s_wait_alu 0xfffe
	s_cmp_lg_u32 s1, 0
	s_barrier_signal -1
	s_barrier_wait -1
	global_inv scope:SCOPE_SE
	s_cbranch_scc0 .LBB19_7
; %bb.5:                                ;   in Loop: Header=BB19_2 Depth=1
	v_dual_mov_b32 v3, v7 :: v_dual_mov_b32 v4, v8
	v_dual_mov_b32 v5, v9 :: v_dual_mov_b32 v6, v10
	s_branch .LBB19_2
.LBB19_6:
	s_wait_loadcnt 0x1
	v_dual_mov_b32 v10, v6 :: v_dual_mov_b32 v9, v5
	v_dual_mov_b32 v8, v4 :: v_dual_mov_b32 v7, v3
.LBB19_7:
	s_add_nc_u64 s[0:1], s[6:7], s[2:3]
	s_clause 0x1
	global_store_b64 v11, v[7:8], s[0:1]
	global_store_b64 v11, v[9:10], s[0:1] offset:2048
	s_wait_loadcnt 0x0
	global_store_b64 v11, v[1:2], s[0:1] offset:4096
	s_endpgm
	.section	.rodata,"a",@progbits
	.p2align	6, 0x0
	.amdhsa_kernel _Z6kernelI13subtract_leftLj256ELj3ELb0EJPxS1_jEEvDpT3_
		.amdhsa_group_segment_fixed_size 4096
		.amdhsa_private_segment_fixed_size 0
		.amdhsa_kernarg_size 20
		.amdhsa_user_sgpr_count 2
		.amdhsa_user_sgpr_dispatch_ptr 0
		.amdhsa_user_sgpr_queue_ptr 0
		.amdhsa_user_sgpr_kernarg_segment_ptr 1
		.amdhsa_user_sgpr_dispatch_id 0
		.amdhsa_user_sgpr_private_segment_size 0
		.amdhsa_wavefront_size32 1
		.amdhsa_uses_dynamic_stack 0
		.amdhsa_enable_private_segment 0
		.amdhsa_system_sgpr_workgroup_id_x 1
		.amdhsa_system_sgpr_workgroup_id_y 0
		.amdhsa_system_sgpr_workgroup_id_z 0
		.amdhsa_system_sgpr_workgroup_info 0
		.amdhsa_system_vgpr_workitem_id 0
		.amdhsa_next_free_vgpr 12
		.amdhsa_next_free_sgpr 8
		.amdhsa_reserve_vcc 1
		.amdhsa_float_round_mode_32 0
		.amdhsa_float_round_mode_16_64 0
		.amdhsa_float_denorm_mode_32 3
		.amdhsa_float_denorm_mode_16_64 3
		.amdhsa_fp16_overflow 0
		.amdhsa_workgroup_processor_mode 1
		.amdhsa_memory_ordered 1
		.amdhsa_forward_progress 1
		.amdhsa_inst_pref_size 4
		.amdhsa_round_robin_scheduling 0
		.amdhsa_exception_fp_ieee_invalid_op 0
		.amdhsa_exception_fp_denorm_src 0
		.amdhsa_exception_fp_ieee_div_zero 0
		.amdhsa_exception_fp_ieee_overflow 0
		.amdhsa_exception_fp_ieee_underflow 0
		.amdhsa_exception_fp_ieee_inexact 0
		.amdhsa_exception_int_div_zero 0
	.end_amdhsa_kernel
	.section	.text._Z6kernelI13subtract_leftLj256ELj3ELb0EJPxS1_jEEvDpT3_,"axG",@progbits,_Z6kernelI13subtract_leftLj256ELj3ELb0EJPxS1_jEEvDpT3_,comdat
.Lfunc_end19:
	.size	_Z6kernelI13subtract_leftLj256ELj3ELb0EJPxS1_jEEvDpT3_, .Lfunc_end19-_Z6kernelI13subtract_leftLj256ELj3ELb0EJPxS1_jEEvDpT3_
                                        ; -- End function
	.set _Z6kernelI13subtract_leftLj256ELj3ELb0EJPxS1_jEEvDpT3_.num_vgpr, 12
	.set _Z6kernelI13subtract_leftLj256ELj3ELb0EJPxS1_jEEvDpT3_.num_agpr, 0
	.set _Z6kernelI13subtract_leftLj256ELj3ELb0EJPxS1_jEEvDpT3_.numbered_sgpr, 8
	.set _Z6kernelI13subtract_leftLj256ELj3ELb0EJPxS1_jEEvDpT3_.num_named_barrier, 0
	.set _Z6kernelI13subtract_leftLj256ELj3ELb0EJPxS1_jEEvDpT3_.private_seg_size, 0
	.set _Z6kernelI13subtract_leftLj256ELj3ELb0EJPxS1_jEEvDpT3_.uses_vcc, 1
	.set _Z6kernelI13subtract_leftLj256ELj3ELb0EJPxS1_jEEvDpT3_.uses_flat_scratch, 0
	.set _Z6kernelI13subtract_leftLj256ELj3ELb0EJPxS1_jEEvDpT3_.has_dyn_sized_stack, 0
	.set _Z6kernelI13subtract_leftLj256ELj3ELb0EJPxS1_jEEvDpT3_.has_recursion, 0
	.set _Z6kernelI13subtract_leftLj256ELj3ELb0EJPxS1_jEEvDpT3_.has_indirect_call, 0
	.section	.AMDGPU.csdata,"",@progbits
; Kernel info:
; codeLenInByte = 400
; TotalNumSgprs: 10
; NumVgprs: 12
; ScratchSize: 0
; MemoryBound: 0
; FloatMode: 240
; IeeeMode: 1
; LDSByteSize: 4096 bytes/workgroup (compile time only)
; SGPRBlocks: 0
; VGPRBlocks: 1
; NumSGPRsForWavesPerEU: 10
; NumVGPRsForWavesPerEU: 12
; Occupancy: 16
; WaveLimiterHint : 1
; COMPUTE_PGM_RSRC2:SCRATCH_EN: 0
; COMPUTE_PGM_RSRC2:USER_SGPR: 2
; COMPUTE_PGM_RSRC2:TRAP_HANDLER: 0
; COMPUTE_PGM_RSRC2:TGID_X_EN: 1
; COMPUTE_PGM_RSRC2:TGID_Y_EN: 0
; COMPUTE_PGM_RSRC2:TGID_Z_EN: 0
; COMPUTE_PGM_RSRC2:TIDIG_COMP_CNT: 0
	.section	.text._Z6kernelI13subtract_leftLj256ELj4ELb0EJPxS1_jEEvDpT3_,"axG",@progbits,_Z6kernelI13subtract_leftLj256ELj4ELb0EJPxS1_jEEvDpT3_,comdat
	.protected	_Z6kernelI13subtract_leftLj256ELj4ELb0EJPxS1_jEEvDpT3_ ; -- Begin function _Z6kernelI13subtract_leftLj256ELj4ELb0EJPxS1_jEEvDpT3_
	.globl	_Z6kernelI13subtract_leftLj256ELj4ELb0EJPxS1_jEEvDpT3_
	.p2align	8
	.type	_Z6kernelI13subtract_leftLj256ELj4ELb0EJPxS1_jEEvDpT3_,@function
_Z6kernelI13subtract_leftLj256ELj4ELb0EJPxS1_jEEvDpT3_: ; @_Z6kernelI13subtract_leftLj256ELj4ELb0EJPxS1_jEEvDpT3_
; %bb.0:
	s_load_b128 s[4:7], s[0:1], 0x0
	s_lshl_b32 s2, ttmp9, 10
	s_mov_b32 s3, 0
	v_lshlrev_b32_e32 v15, 3, v0
	s_lshl_b64 s[2:3], s[2:3], 3
	s_load_b32 s1, s[0:1], 0x10
	s_wait_kmcnt 0x0
	s_add_nc_u64 s[4:5], s[4:5], s[2:3]
	s_clause 0x3
	global_load_b64 v[7:8], v15, s[4:5]
	global_load_b64 v[3:4], v15, s[4:5] offset:2048
	global_load_b64 v[5:6], v15, s[4:5] offset:4096
	;; [unrolled: 1-line block ×3, first 2 shown]
	s_cmp_eq_u32 s1, 0
	s_cbranch_scc1 .LBB20_6
; %bb.1:
	v_cmp_ne_u32_e32 vcc_lo, 0, v0
	v_add_nc_u32_e32 v0, -8, v15
.LBB20_2:                               ; =>This Inner Loop Header: Depth=1
	s_wait_loadcnt 0x3
	v_dual_mov_b32 v10, v8 :: v_dual_mov_b32 v9, v7
	s_wait_loadcnt 0x0
	ds_store_b64 v15, v[1:2]
	s_wait_dscnt 0x0
	s_barrier_signal -1
	s_barrier_wait -1
	global_inv scope:SCOPE_SE
	s_and_saveexec_b32 s4, vcc_lo
	s_cbranch_execz .LBB20_4
; %bb.3:                                ;   in Loop: Header=BB20_2 Depth=1
	ds_load_b64 v[9:10], v0
	s_wait_dscnt 0x0
	v_sub_co_u32 v9, s0, v7, v9
	s_wait_alu 0xf1ff
	v_sub_co_ci_u32_e64 v10, null, v8, v10, s0
.LBB20_4:                               ;   in Loop: Header=BB20_2 Depth=1
	s_or_b32 exec_lo, exec_lo, s4
	v_lshlrev_b64_e32 v[11:12], 1, v[3:4]
	v_lshlrev_b64_e32 v[13:14], 1, v[5:6]
	v_add_co_u32 v9, s0, v9, v7
	v_lshlrev_b64_e32 v[1:2], 1, v[1:2]
	s_wait_alu 0xf1ff
	v_add_co_ci_u32_e64 v10, null, v10, v8, s0
	v_sub_co_u32 v11, s0, v11, v7
	s_wait_alu 0xf1ff
	v_sub_co_ci_u32_e64 v12, null, v12, v8, s0
	v_sub_co_u32 v13, s0, v13, v3
	s_wait_alu 0xf1ff
	v_sub_co_ci_u32_e64 v14, null, v14, v4, s0
	;; [unrolled: 3-line block ×3, first 2 shown]
	s_add_co_i32 s1, s1, -1
	s_wait_loadcnt 0x0
	s_wait_alu 0xfffe
	s_cmp_lg_u32 s1, 0
	s_barrier_signal -1
	s_barrier_wait -1
	global_inv scope:SCOPE_SE
	s_cbranch_scc0 .LBB20_7
; %bb.5:                                ;   in Loop: Header=BB20_2 Depth=1
	v_dual_mov_b32 v7, v9 :: v_dual_mov_b32 v8, v10
	v_dual_mov_b32 v3, v11 :: v_dual_mov_b32 v4, v12
	;; [unrolled: 1-line block ×3, first 2 shown]
	s_branch .LBB20_2
.LBB20_6:
	s_wait_loadcnt 0x1
	v_dual_mov_b32 v14, v6 :: v_dual_mov_b32 v13, v5
	v_dual_mov_b32 v12, v4 :: v_dual_mov_b32 v11, v3
	v_dual_mov_b32 v10, v8 :: v_dual_mov_b32 v9, v7
.LBB20_7:
	s_add_nc_u64 s[0:1], s[6:7], s[2:3]
	s_clause 0x2
	global_store_b64 v15, v[9:10], s[0:1]
	global_store_b64 v15, v[11:12], s[0:1] offset:2048
	global_store_b64 v15, v[13:14], s[0:1] offset:4096
	s_wait_loadcnt 0x0
	global_store_b64 v15, v[1:2], s[0:1] offset:6144
	s_endpgm
	.section	.rodata,"a",@progbits
	.p2align	6, 0x0
	.amdhsa_kernel _Z6kernelI13subtract_leftLj256ELj4ELb0EJPxS1_jEEvDpT3_
		.amdhsa_group_segment_fixed_size 4096
		.amdhsa_private_segment_fixed_size 0
		.amdhsa_kernarg_size 20
		.amdhsa_user_sgpr_count 2
		.amdhsa_user_sgpr_dispatch_ptr 0
		.amdhsa_user_sgpr_queue_ptr 0
		.amdhsa_user_sgpr_kernarg_segment_ptr 1
		.amdhsa_user_sgpr_dispatch_id 0
		.amdhsa_user_sgpr_private_segment_size 0
		.amdhsa_wavefront_size32 1
		.amdhsa_uses_dynamic_stack 0
		.amdhsa_enable_private_segment 0
		.amdhsa_system_sgpr_workgroup_id_x 1
		.amdhsa_system_sgpr_workgroup_id_y 0
		.amdhsa_system_sgpr_workgroup_id_z 0
		.amdhsa_system_sgpr_workgroup_info 0
		.amdhsa_system_vgpr_workitem_id 0
		.amdhsa_next_free_vgpr 16
		.amdhsa_next_free_sgpr 8
		.amdhsa_reserve_vcc 1
		.amdhsa_float_round_mode_32 0
		.amdhsa_float_round_mode_16_64 0
		.amdhsa_float_denorm_mode_32 3
		.amdhsa_float_denorm_mode_16_64 3
		.amdhsa_fp16_overflow 0
		.amdhsa_workgroup_processor_mode 1
		.amdhsa_memory_ordered 1
		.amdhsa_forward_progress 1
		.amdhsa_inst_pref_size 4
		.amdhsa_round_robin_scheduling 0
		.amdhsa_exception_fp_ieee_invalid_op 0
		.amdhsa_exception_fp_denorm_src 0
		.amdhsa_exception_fp_ieee_div_zero 0
		.amdhsa_exception_fp_ieee_overflow 0
		.amdhsa_exception_fp_ieee_underflow 0
		.amdhsa_exception_fp_ieee_inexact 0
		.amdhsa_exception_int_div_zero 0
	.end_amdhsa_kernel
	.section	.text._Z6kernelI13subtract_leftLj256ELj4ELb0EJPxS1_jEEvDpT3_,"axG",@progbits,_Z6kernelI13subtract_leftLj256ELj4ELb0EJPxS1_jEEvDpT3_,comdat
.Lfunc_end20:
	.size	_Z6kernelI13subtract_leftLj256ELj4ELb0EJPxS1_jEEvDpT3_, .Lfunc_end20-_Z6kernelI13subtract_leftLj256ELj4ELb0EJPxS1_jEEvDpT3_
                                        ; -- End function
	.set _Z6kernelI13subtract_leftLj256ELj4ELb0EJPxS1_jEEvDpT3_.num_vgpr, 16
	.set _Z6kernelI13subtract_leftLj256ELj4ELb0EJPxS1_jEEvDpT3_.num_agpr, 0
	.set _Z6kernelI13subtract_leftLj256ELj4ELb0EJPxS1_jEEvDpT3_.numbered_sgpr, 8
	.set _Z6kernelI13subtract_leftLj256ELj4ELb0EJPxS1_jEEvDpT3_.num_named_barrier, 0
	.set _Z6kernelI13subtract_leftLj256ELj4ELb0EJPxS1_jEEvDpT3_.private_seg_size, 0
	.set _Z6kernelI13subtract_leftLj256ELj4ELb0EJPxS1_jEEvDpT3_.uses_vcc, 1
	.set _Z6kernelI13subtract_leftLj256ELj4ELb0EJPxS1_jEEvDpT3_.uses_flat_scratch, 0
	.set _Z6kernelI13subtract_leftLj256ELj4ELb0EJPxS1_jEEvDpT3_.has_dyn_sized_stack, 0
	.set _Z6kernelI13subtract_leftLj256ELj4ELb0EJPxS1_jEEvDpT3_.has_recursion, 0
	.set _Z6kernelI13subtract_leftLj256ELj4ELb0EJPxS1_jEEvDpT3_.has_indirect_call, 0
	.section	.AMDGPU.csdata,"",@progbits
; Kernel info:
; codeLenInByte = 452
; TotalNumSgprs: 10
; NumVgprs: 16
; ScratchSize: 0
; MemoryBound: 0
; FloatMode: 240
; IeeeMode: 1
; LDSByteSize: 4096 bytes/workgroup (compile time only)
; SGPRBlocks: 0
; VGPRBlocks: 1
; NumSGPRsForWavesPerEU: 10
; NumVGPRsForWavesPerEU: 16
; Occupancy: 16
; WaveLimiterHint : 1
; COMPUTE_PGM_RSRC2:SCRATCH_EN: 0
; COMPUTE_PGM_RSRC2:USER_SGPR: 2
; COMPUTE_PGM_RSRC2:TRAP_HANDLER: 0
; COMPUTE_PGM_RSRC2:TGID_X_EN: 1
; COMPUTE_PGM_RSRC2:TGID_Y_EN: 0
; COMPUTE_PGM_RSRC2:TGID_Z_EN: 0
; COMPUTE_PGM_RSRC2:TIDIG_COMP_CNT: 0
	.section	.text._Z6kernelI13subtract_leftLj256ELj8ELb0EJPxS1_jEEvDpT3_,"axG",@progbits,_Z6kernelI13subtract_leftLj256ELj8ELb0EJPxS1_jEEvDpT3_,comdat
	.protected	_Z6kernelI13subtract_leftLj256ELj8ELb0EJPxS1_jEEvDpT3_ ; -- Begin function _Z6kernelI13subtract_leftLj256ELj8ELb0EJPxS1_jEEvDpT3_
	.globl	_Z6kernelI13subtract_leftLj256ELj8ELb0EJPxS1_jEEvDpT3_
	.p2align	8
	.type	_Z6kernelI13subtract_leftLj256ELj8ELb0EJPxS1_jEEvDpT3_,@function
_Z6kernelI13subtract_leftLj256ELj8ELb0EJPxS1_jEEvDpT3_: ; @_Z6kernelI13subtract_leftLj256ELj8ELb0EJPxS1_jEEvDpT3_
; %bb.0:
	s_load_b128 s[4:7], s[0:1], 0x0
	s_lshl_b32 s2, ttmp9, 11
	s_mov_b32 s3, 0
	v_lshlrev_b32_e32 v19, 3, v0
	s_lshl_b64 s[2:3], s[2:3], 3
	s_load_b32 s1, s[0:1], 0x10
	s_wait_kmcnt 0x0
	s_add_nc_u64 s[4:5], s[4:5], s[2:3]
	s_clause 0x7
	global_load_b64 v[1:2], v19, s[4:5]
	global_load_b64 v[3:4], v19, s[4:5] offset:2048
	global_load_b64 v[5:6], v19, s[4:5] offset:4096
	;; [unrolled: 1-line block ×7, first 2 shown]
	s_cmp_eq_u32 s1, 0
	s_cbranch_scc1 .LBB21_5
; %bb.1:
	v_cmp_ne_u32_e32 vcc_lo, 0, v0
	v_add_nc_u32_e32 v0, -8, v19
	s_branch .LBB21_3
.LBB21_2:                               ;   in Loop: Header=BB21_3 Depth=1
	s_or_b32 exec_lo, exec_lo, s4
	v_sub_co_u32 v20, s0, v15, v13
	s_wait_alu 0xf1ff
	v_sub_co_ci_u32_e64 v21, null, v16, v14, s0
	v_sub_co_u32 v22, s0, v13, v11
	s_wait_alu 0xf1ff
	v_sub_co_ci_u32_e64 v23, null, v14, v12, s0
	;; [unrolled: 3-line block ×7, first 2 shown]
	v_add_co_u32 v1, s0, v17, v1
	s_wait_alu 0xf1ff
	v_add_co_ci_u32_e64 v2, null, v18, v2, s0
	v_add_co_u32 v3, s0, v32, v3
	s_wait_alu 0xf1ff
	v_add_co_ci_u32_e64 v4, null, v33, v4, s0
	v_add_co_u32 v5, s0, v30, v5
	s_wait_alu 0xf1ff
	v_add_co_ci_u32_e64 v6, null, v31, v6, s0
	v_add_co_u32 v7, s0, v28, v7
	s_wait_alu 0xf1ff
	v_add_co_ci_u32_e64 v8, null, v29, v8, s0
	v_add_co_u32 v9, s0, v26, v9
	s_wait_alu 0xf1ff
	v_add_co_ci_u32_e64 v10, null, v27, v10, s0
	v_add_co_u32 v11, s0, v24, v11
	s_wait_alu 0xf1ff
	v_add_co_ci_u32_e64 v12, null, v25, v12, s0
	v_add_co_u32 v13, s0, v22, v13
	s_wait_alu 0xf1ff
	v_add_co_ci_u32_e64 v14, null, v23, v14, s0
	v_add_co_u32 v15, s0, v20, v15
	s_wait_alu 0xf1ff
	v_add_co_ci_u32_e64 v16, null, v21, v16, s0
	s_add_co_i32 s1, s1, -1
	s_wait_loadcnt 0x0
	s_wait_alu 0xfffe
	s_cmp_lg_u32 s1, 0
	s_barrier_signal -1
	s_barrier_wait -1
	global_inv scope:SCOPE_SE
	s_cbranch_scc0 .LBB21_5
.LBB21_3:                               ; =>This Inner Loop Header: Depth=1
	s_wait_loadcnt 0x7
	v_dual_mov_b32 v18, v2 :: v_dual_mov_b32 v17, v1
	s_wait_loadcnt 0x0
	ds_store_b64 v19, v[15:16]
	s_wait_dscnt 0x0
	s_barrier_signal -1
	s_barrier_wait -1
	global_inv scope:SCOPE_SE
	s_and_saveexec_b32 s4, vcc_lo
	s_cbranch_execz .LBB21_2
; %bb.4:                                ;   in Loop: Header=BB21_3 Depth=1
	ds_load_b64 v[17:18], v0
	s_wait_dscnt 0x0
	v_sub_co_u32 v17, s0, v1, v17
	s_wait_alu 0xf1ff
	v_sub_co_ci_u32_e64 v18, null, v2, v18, s0
	s_branch .LBB21_2
.LBB21_5:
	s_add_nc_u64 s[0:1], s[6:7], s[2:3]
	s_wait_loadcnt 0x7
	global_store_b64 v19, v[1:2], s[0:1]
	s_wait_loadcnt 0x6
	global_store_b64 v19, v[3:4], s[0:1] offset:2048
	s_wait_loadcnt 0x5
	global_store_b64 v19, v[5:6], s[0:1] offset:4096
	;; [unrolled: 2-line block ×7, first 2 shown]
	s_endpgm
	.section	.rodata,"a",@progbits
	.p2align	6, 0x0
	.amdhsa_kernel _Z6kernelI13subtract_leftLj256ELj8ELb0EJPxS1_jEEvDpT3_
		.amdhsa_group_segment_fixed_size 4096
		.amdhsa_private_segment_fixed_size 0
		.amdhsa_kernarg_size 20
		.amdhsa_user_sgpr_count 2
		.amdhsa_user_sgpr_dispatch_ptr 0
		.amdhsa_user_sgpr_queue_ptr 0
		.amdhsa_user_sgpr_kernarg_segment_ptr 1
		.amdhsa_user_sgpr_dispatch_id 0
		.amdhsa_user_sgpr_private_segment_size 0
		.amdhsa_wavefront_size32 1
		.amdhsa_uses_dynamic_stack 0
		.amdhsa_enable_private_segment 0
		.amdhsa_system_sgpr_workgroup_id_x 1
		.amdhsa_system_sgpr_workgroup_id_y 0
		.amdhsa_system_sgpr_workgroup_id_z 0
		.amdhsa_system_sgpr_workgroup_info 0
		.amdhsa_system_vgpr_workitem_id 0
		.amdhsa_next_free_vgpr 34
		.amdhsa_next_free_sgpr 8
		.amdhsa_reserve_vcc 1
		.amdhsa_float_round_mode_32 0
		.amdhsa_float_round_mode_16_64 0
		.amdhsa_float_denorm_mode_32 3
		.amdhsa_float_denorm_mode_16_64 3
		.amdhsa_fp16_overflow 0
		.amdhsa_workgroup_processor_mode 1
		.amdhsa_memory_ordered 1
		.amdhsa_forward_progress 1
		.amdhsa_inst_pref_size 6
		.amdhsa_round_robin_scheduling 0
		.amdhsa_exception_fp_ieee_invalid_op 0
		.amdhsa_exception_fp_denorm_src 0
		.amdhsa_exception_fp_ieee_div_zero 0
		.amdhsa_exception_fp_ieee_overflow 0
		.amdhsa_exception_fp_ieee_underflow 0
		.amdhsa_exception_fp_ieee_inexact 0
		.amdhsa_exception_int_div_zero 0
	.end_amdhsa_kernel
	.section	.text._Z6kernelI13subtract_leftLj256ELj8ELb0EJPxS1_jEEvDpT3_,"axG",@progbits,_Z6kernelI13subtract_leftLj256ELj8ELb0EJPxS1_jEEvDpT3_,comdat
.Lfunc_end21:
	.size	_Z6kernelI13subtract_leftLj256ELj8ELb0EJPxS1_jEEvDpT3_, .Lfunc_end21-_Z6kernelI13subtract_leftLj256ELj8ELb0EJPxS1_jEEvDpT3_
                                        ; -- End function
	.set _Z6kernelI13subtract_leftLj256ELj8ELb0EJPxS1_jEEvDpT3_.num_vgpr, 34
	.set _Z6kernelI13subtract_leftLj256ELj8ELb0EJPxS1_jEEvDpT3_.num_agpr, 0
	.set _Z6kernelI13subtract_leftLj256ELj8ELb0EJPxS1_jEEvDpT3_.numbered_sgpr, 8
	.set _Z6kernelI13subtract_leftLj256ELj8ELb0EJPxS1_jEEvDpT3_.num_named_barrier, 0
	.set _Z6kernelI13subtract_leftLj256ELj8ELb0EJPxS1_jEEvDpT3_.private_seg_size, 0
	.set _Z6kernelI13subtract_leftLj256ELj8ELb0EJPxS1_jEEvDpT3_.uses_vcc, 1
	.set _Z6kernelI13subtract_leftLj256ELj8ELb0EJPxS1_jEEvDpT3_.uses_flat_scratch, 0
	.set _Z6kernelI13subtract_leftLj256ELj8ELb0EJPxS1_jEEvDpT3_.has_dyn_sized_stack, 0
	.set _Z6kernelI13subtract_leftLj256ELj8ELb0EJPxS1_jEEvDpT3_.has_recursion, 0
	.set _Z6kernelI13subtract_leftLj256ELj8ELb0EJPxS1_jEEvDpT3_.has_indirect_call, 0
	.section	.AMDGPU.csdata,"",@progbits
; Kernel info:
; codeLenInByte = 732
; TotalNumSgprs: 10
; NumVgprs: 34
; ScratchSize: 0
; MemoryBound: 0
; FloatMode: 240
; IeeeMode: 1
; LDSByteSize: 4096 bytes/workgroup (compile time only)
; SGPRBlocks: 0
; VGPRBlocks: 4
; NumSGPRsForWavesPerEU: 10
; NumVGPRsForWavesPerEU: 34
; Occupancy: 16
; WaveLimiterHint : 1
; COMPUTE_PGM_RSRC2:SCRATCH_EN: 0
; COMPUTE_PGM_RSRC2:USER_SGPR: 2
; COMPUTE_PGM_RSRC2:TRAP_HANDLER: 0
; COMPUTE_PGM_RSRC2:TGID_X_EN: 1
; COMPUTE_PGM_RSRC2:TGID_Y_EN: 0
; COMPUTE_PGM_RSRC2:TGID_Z_EN: 0
; COMPUTE_PGM_RSRC2:TIDIG_COMP_CNT: 0
	.section	.text._Z6kernelI13subtract_leftLj256ELj16ELb0EJPxS1_jEEvDpT3_,"axG",@progbits,_Z6kernelI13subtract_leftLj256ELj16ELb0EJPxS1_jEEvDpT3_,comdat
	.protected	_Z6kernelI13subtract_leftLj256ELj16ELb0EJPxS1_jEEvDpT3_ ; -- Begin function _Z6kernelI13subtract_leftLj256ELj16ELb0EJPxS1_jEEvDpT3_
	.globl	_Z6kernelI13subtract_leftLj256ELj16ELb0EJPxS1_jEEvDpT3_
	.p2align	8
	.type	_Z6kernelI13subtract_leftLj256ELj16ELb0EJPxS1_jEEvDpT3_,@function
_Z6kernelI13subtract_leftLj256ELj16ELb0EJPxS1_jEEvDpT3_: ; @_Z6kernelI13subtract_leftLj256ELj16ELb0EJPxS1_jEEvDpT3_
; %bb.0:
	s_load_b128 s[4:7], s[0:1], 0x0
	s_lshl_b32 s2, ttmp9, 12
	s_mov_b32 s3, 0
	v_lshlrev_b32_e32 v35, 3, v0
	s_lshl_b64 s[2:3], s[2:3], 3
	s_load_b32 s1, s[0:1], 0x10
	s_wait_kmcnt 0x0
	s_add_nc_u64 s[4:5], s[4:5], s[2:3]
	s_clause 0xf
	global_load_b64 v[1:2], v35, s[4:5]
	global_load_b64 v[3:4], v35, s[4:5] offset:2048
	global_load_b64 v[5:6], v35, s[4:5] offset:4096
	;; [unrolled: 1-line block ×15, first 2 shown]
	s_cmp_eq_u32 s1, 0
	s_cbranch_scc1 .LBB22_5
; %bb.1:
	v_cmp_ne_u32_e32 vcc_lo, 0, v0
	v_add_nc_u32_e32 v0, -8, v35
	s_branch .LBB22_3
.LBB22_2:                               ;   in Loop: Header=BB22_3 Depth=1
	s_or_b32 exec_lo, exec_lo, s4
	v_sub_co_u32 v36, s0, v31, v29
	s_wait_alu 0xf1ff
	v_sub_co_ci_u32_e64 v37, null, v32, v30, s0
	v_sub_co_u32 v38, s0, v29, v27
	s_wait_alu 0xf1ff
	v_sub_co_ci_u32_e64 v39, null, v30, v28, s0
	v_sub_co_u32 v40, s0, v27, v25
	s_wait_alu 0xf1ff
	v_sub_co_ci_u32_e64 v41, null, v28, v26, s0
	v_sub_co_u32 v42, s0, v25, v23
	s_wait_alu 0xf1ff
	v_sub_co_ci_u32_e64 v43, null, v26, v24, s0
	v_sub_co_u32 v44, s0, v23, v21
	s_wait_alu 0xf1ff
	v_sub_co_ci_u32_e64 v45, null, v24, v22, s0
	v_sub_co_u32 v46, s0, v21, v19
	s_wait_alu 0xf1ff
	v_sub_co_ci_u32_e64 v47, null, v22, v20, s0
	v_sub_co_u32 v48, s0, v19, v17
	s_wait_alu 0xf1ff
	v_sub_co_ci_u32_e64 v49, null, v20, v18, s0
	v_sub_co_u32 v50, s0, v17, v15
	s_wait_alu 0xf1ff
	v_sub_co_ci_u32_e64 v51, null, v18, v16, s0
	v_sub_co_u32 v52, s0, v15, v13
	s_wait_alu 0xf1ff
	v_sub_co_ci_u32_e64 v53, null, v16, v14, s0
	v_sub_co_u32 v54, s0, v13, v11
	s_wait_alu 0xf1ff
	v_sub_co_ci_u32_e64 v55, null, v14, v12, s0
	v_sub_co_u32 v56, s0, v11, v9
	s_wait_alu 0xf1ff
	v_sub_co_ci_u32_e64 v57, null, v12, v10, s0
	v_sub_co_u32 v58, s0, v9, v7
	s_wait_alu 0xf1ff
	v_sub_co_ci_u32_e64 v59, null, v10, v8, s0
	v_sub_co_u32 v60, s0, v7, v5
	s_wait_alu 0xf1ff
	v_sub_co_ci_u32_e64 v61, null, v8, v6, s0
	v_sub_co_u32 v62, s0, v5, v3
	s_wait_alu 0xf1ff
	v_sub_co_ci_u32_e64 v63, null, v6, v4, s0
	v_sub_co_u32 v64, s0, v3, v1
	s_wait_alu 0xf1ff
	v_sub_co_ci_u32_e64 v65, null, v4, v2, s0
	v_add_co_u32 v1, s0, v33, v1
	s_wait_alu 0xf1ff
	v_add_co_ci_u32_e64 v2, null, v34, v2, s0
	v_add_co_u32 v3, s0, v64, v3
	s_wait_alu 0xf1ff
	v_add_co_ci_u32_e64 v4, null, v65, v4, s0
	;; [unrolled: 3-line block ×16, first 2 shown]
	s_add_co_i32 s1, s1, -1
	s_wait_loadcnt 0x0
	s_wait_alu 0xfffe
	s_cmp_lg_u32 s1, 0
	s_barrier_signal -1
	s_barrier_wait -1
	global_inv scope:SCOPE_SE
	s_cbranch_scc0 .LBB22_5
.LBB22_3:                               ; =>This Inner Loop Header: Depth=1
	s_wait_loadcnt 0xf
	v_dual_mov_b32 v34, v2 :: v_dual_mov_b32 v33, v1
	s_wait_loadcnt 0x0
	ds_store_b64 v35, v[31:32]
	s_wait_dscnt 0x0
	s_barrier_signal -1
	s_barrier_wait -1
	global_inv scope:SCOPE_SE
	s_and_saveexec_b32 s4, vcc_lo
	s_cbranch_execz .LBB22_2
; %bb.4:                                ;   in Loop: Header=BB22_3 Depth=1
	ds_load_b64 v[33:34], v0
	s_wait_dscnt 0x0
	v_sub_co_u32 v33, s0, v1, v33
	s_wait_alu 0xf1ff
	v_sub_co_ci_u32_e64 v34, null, v2, v34, s0
	s_branch .LBB22_2
.LBB22_5:
	s_add_nc_u64 s[0:1], s[6:7], s[2:3]
	s_wait_loadcnt 0xf
	global_store_b64 v35, v[1:2], s[0:1]
	s_wait_loadcnt 0xe
	global_store_b64 v35, v[3:4], s[0:1] offset:2048
	s_wait_loadcnt 0xd
	global_store_b64 v35, v[5:6], s[0:1] offset:4096
	;; [unrolled: 2-line block ×15, first 2 shown]
	s_endpgm
	.section	.rodata,"a",@progbits
	.p2align	6, 0x0
	.amdhsa_kernel _Z6kernelI13subtract_leftLj256ELj16ELb0EJPxS1_jEEvDpT3_
		.amdhsa_group_segment_fixed_size 4096
		.amdhsa_private_segment_fixed_size 0
		.amdhsa_kernarg_size 20
		.amdhsa_user_sgpr_count 2
		.amdhsa_user_sgpr_dispatch_ptr 0
		.amdhsa_user_sgpr_queue_ptr 0
		.amdhsa_user_sgpr_kernarg_segment_ptr 1
		.amdhsa_user_sgpr_dispatch_id 0
		.amdhsa_user_sgpr_private_segment_size 0
		.amdhsa_wavefront_size32 1
		.amdhsa_uses_dynamic_stack 0
		.amdhsa_enable_private_segment 0
		.amdhsa_system_sgpr_workgroup_id_x 1
		.amdhsa_system_sgpr_workgroup_id_y 0
		.amdhsa_system_sgpr_workgroup_id_z 0
		.amdhsa_system_sgpr_workgroup_info 0
		.amdhsa_system_vgpr_workitem_id 0
		.amdhsa_next_free_vgpr 66
		.amdhsa_next_free_sgpr 8
		.amdhsa_reserve_vcc 1
		.amdhsa_float_round_mode_32 0
		.amdhsa_float_round_mode_16_64 0
		.amdhsa_float_denorm_mode_32 3
		.amdhsa_float_denorm_mode_16_64 3
		.amdhsa_fp16_overflow 0
		.amdhsa_workgroup_processor_mode 1
		.amdhsa_memory_ordered 1
		.amdhsa_forward_progress 1
		.amdhsa_inst_pref_size 10
		.amdhsa_round_robin_scheduling 0
		.amdhsa_exception_fp_ieee_invalid_op 0
		.amdhsa_exception_fp_denorm_src 0
		.amdhsa_exception_fp_ieee_div_zero 0
		.amdhsa_exception_fp_ieee_overflow 0
		.amdhsa_exception_fp_ieee_underflow 0
		.amdhsa_exception_fp_ieee_inexact 0
		.amdhsa_exception_int_div_zero 0
	.end_amdhsa_kernel
	.section	.text._Z6kernelI13subtract_leftLj256ELj16ELb0EJPxS1_jEEvDpT3_,"axG",@progbits,_Z6kernelI13subtract_leftLj256ELj16ELb0EJPxS1_jEEvDpT3_,comdat
.Lfunc_end22:
	.size	_Z6kernelI13subtract_leftLj256ELj16ELb0EJPxS1_jEEvDpT3_, .Lfunc_end22-_Z6kernelI13subtract_leftLj256ELj16ELb0EJPxS1_jEEvDpT3_
                                        ; -- End function
	.set _Z6kernelI13subtract_leftLj256ELj16ELb0EJPxS1_jEEvDpT3_.num_vgpr, 66
	.set _Z6kernelI13subtract_leftLj256ELj16ELb0EJPxS1_jEEvDpT3_.num_agpr, 0
	.set _Z6kernelI13subtract_leftLj256ELj16ELb0EJPxS1_jEEvDpT3_.numbered_sgpr, 8
	.set _Z6kernelI13subtract_leftLj256ELj16ELb0EJPxS1_jEEvDpT3_.num_named_barrier, 0
	.set _Z6kernelI13subtract_leftLj256ELj16ELb0EJPxS1_jEEvDpT3_.private_seg_size, 0
	.set _Z6kernelI13subtract_leftLj256ELj16ELb0EJPxS1_jEEvDpT3_.uses_vcc, 1
	.set _Z6kernelI13subtract_leftLj256ELj16ELb0EJPxS1_jEEvDpT3_.uses_flat_scratch, 0
	.set _Z6kernelI13subtract_leftLj256ELj16ELb0EJPxS1_jEEvDpT3_.has_dyn_sized_stack, 0
	.set _Z6kernelI13subtract_leftLj256ELj16ELb0EJPxS1_jEEvDpT3_.has_recursion, 0
	.set _Z6kernelI13subtract_leftLj256ELj16ELb0EJPxS1_jEEvDpT3_.has_indirect_call, 0
	.section	.AMDGPU.csdata,"",@progbits
; Kernel info:
; codeLenInByte = 1276
; TotalNumSgprs: 10
; NumVgprs: 66
; ScratchSize: 0
; MemoryBound: 0
; FloatMode: 240
; IeeeMode: 1
; LDSByteSize: 4096 bytes/workgroup (compile time only)
; SGPRBlocks: 0
; VGPRBlocks: 8
; NumSGPRsForWavesPerEU: 10
; NumVGPRsForWavesPerEU: 66
; Occupancy: 16
; WaveLimiterHint : 1
; COMPUTE_PGM_RSRC2:SCRATCH_EN: 0
; COMPUTE_PGM_RSRC2:USER_SGPR: 2
; COMPUTE_PGM_RSRC2:TRAP_HANDLER: 0
; COMPUTE_PGM_RSRC2:TGID_X_EN: 1
; COMPUTE_PGM_RSRC2:TGID_Y_EN: 0
; COMPUTE_PGM_RSRC2:TGID_Z_EN: 0
; COMPUTE_PGM_RSRC2:TIDIG_COMP_CNT: 0
	.section	.text._Z6kernelI13subtract_leftLj256ELj32ELb0EJPxS1_jEEvDpT3_,"axG",@progbits,_Z6kernelI13subtract_leftLj256ELj32ELb0EJPxS1_jEEvDpT3_,comdat
	.protected	_Z6kernelI13subtract_leftLj256ELj32ELb0EJPxS1_jEEvDpT3_ ; -- Begin function _Z6kernelI13subtract_leftLj256ELj32ELb0EJPxS1_jEEvDpT3_
	.globl	_Z6kernelI13subtract_leftLj256ELj32ELb0EJPxS1_jEEvDpT3_
	.p2align	8
	.type	_Z6kernelI13subtract_leftLj256ELj32ELb0EJPxS1_jEEvDpT3_,@function
_Z6kernelI13subtract_leftLj256ELj32ELb0EJPxS1_jEEvDpT3_: ; @_Z6kernelI13subtract_leftLj256ELj32ELb0EJPxS1_jEEvDpT3_
; %bb.0:
	s_load_b128 s[4:7], s[0:1], 0x0
	s_lshl_b32 s2, ttmp9, 13
	s_mov_b32 s3, 0
	v_lshlrev_b32_e32 v67, 3, v0
	s_lshl_b64 s[2:3], s[2:3], 3
	s_load_b32 s1, s[0:1], 0x10
	s_wait_kmcnt 0x0
	s_add_nc_u64 s[4:5], s[4:5], s[2:3]
	s_clause 0x1f
	global_load_b64 v[1:2], v67, s[4:5]
	global_load_b64 v[3:4], v67, s[4:5] offset:2048
	global_load_b64 v[5:6], v67, s[4:5] offset:4096
	;; [unrolled: 1-line block ×31, first 2 shown]
	s_cmp_eq_u32 s1, 0
	s_cbranch_scc1 .LBB23_5
; %bb.1:
	v_cmp_ne_u32_e32 vcc_lo, 0, v0
	v_add_nc_u32_e32 v0, -8, v67
	s_branch .LBB23_3
.LBB23_2:                               ;   in Loop: Header=BB23_3 Depth=1
	s_or_b32 exec_lo, exec_lo, s4
	v_sub_co_u32 v68, s0, v63, v61
	s_wait_alu 0xf1ff
	v_sub_co_ci_u32_e64 v69, null, v64, v62, s0
	v_sub_co_u32 v70, s0, v61, v59
	s_wait_alu 0xf1ff
	v_sub_co_ci_u32_e64 v71, null, v62, v60, s0
	;; [unrolled: 3-line block ×13, first 2 shown]
	v_add_co_u32 v1, s0, v65, v1
	s_wait_alu 0xf1ff
	v_add_co_ci_u32_e64 v2, null, v66, v2, s0
	v_sub_co_u32 v65, s0, v5, v3
	s_wait_alu 0xf1ff
	v_sub_co_ci_u32_e64 v66, null, v6, v4, s0
	v_add_co_u32 v3, s0, v92, v3
	s_wait_alu 0xf1ff
	v_add_co_ci_u32_e64 v4, null, v93, v4, s0
	v_sub_co_u32 v92, s0, v7, v5
	s_wait_alu 0xf1ff
	v_sub_co_ci_u32_e64 v93, null, v8, v6, s0
	;; [unrolled: 6-line block ×18, first 2 shown]
	v_add_co_u32 v37, s0, v65, v37
	s_wait_alu 0xf1ff
	v_add_co_ci_u32_e64 v38, null, v66, v38, s0
	v_add_co_u32 v39, s0, v92, v39
	s_wait_alu 0xf1ff
	v_add_co_ci_u32_e64 v40, null, v93, v40, s0
	;; [unrolled: 3-line block ×14, first 2 shown]
	s_add_co_i32 s1, s1, -1
	s_wait_loadcnt 0x0
	s_wait_alu 0xfffe
	s_cmp_lg_u32 s1, 0
	s_barrier_signal -1
	s_barrier_wait -1
	global_inv scope:SCOPE_SE
	s_cbranch_scc0 .LBB23_5
.LBB23_3:                               ; =>This Inner Loop Header: Depth=1
	s_wait_loadcnt 0x1f
	v_dual_mov_b32 v66, v2 :: v_dual_mov_b32 v65, v1
	s_wait_loadcnt 0x0
	ds_store_b64 v67, v[63:64]
	s_wait_dscnt 0x0
	s_barrier_signal -1
	s_barrier_wait -1
	global_inv scope:SCOPE_SE
	s_and_saveexec_b32 s4, vcc_lo
	s_cbranch_execz .LBB23_2
; %bb.4:                                ;   in Loop: Header=BB23_3 Depth=1
	ds_load_b64 v[65:66], v0
	s_wait_dscnt 0x0
	v_sub_co_u32 v65, s0, v1, v65
	s_wait_alu 0xf1ff
	v_sub_co_ci_u32_e64 v66, null, v2, v66, s0
	s_branch .LBB23_2
.LBB23_5:
	s_add_nc_u64 s[0:1], s[6:7], s[2:3]
	s_wait_loadcnt 0x1f
	global_store_b64 v67, v[1:2], s[0:1]
	s_wait_loadcnt 0x1e
	global_store_b64 v67, v[3:4], s[0:1] offset:2048
	s_wait_loadcnt 0x1d
	global_store_b64 v67, v[5:6], s[0:1] offset:4096
	;; [unrolled: 2-line block ×31, first 2 shown]
	s_endpgm
	.section	.rodata,"a",@progbits
	.p2align	6, 0x0
	.amdhsa_kernel _Z6kernelI13subtract_leftLj256ELj32ELb0EJPxS1_jEEvDpT3_
		.amdhsa_group_segment_fixed_size 4096
		.amdhsa_private_segment_fixed_size 0
		.amdhsa_kernarg_size 20
		.amdhsa_user_sgpr_count 2
		.amdhsa_user_sgpr_dispatch_ptr 0
		.amdhsa_user_sgpr_queue_ptr 0
		.amdhsa_user_sgpr_kernarg_segment_ptr 1
		.amdhsa_user_sgpr_dispatch_id 0
		.amdhsa_user_sgpr_private_segment_size 0
		.amdhsa_wavefront_size32 1
		.amdhsa_uses_dynamic_stack 0
		.amdhsa_enable_private_segment 0
		.amdhsa_system_sgpr_workgroup_id_x 1
		.amdhsa_system_sgpr_workgroup_id_y 0
		.amdhsa_system_sgpr_workgroup_id_z 0
		.amdhsa_system_sgpr_workgroup_info 0
		.amdhsa_system_vgpr_workitem_id 0
		.amdhsa_next_free_vgpr 94
		.amdhsa_next_free_sgpr 8
		.amdhsa_reserve_vcc 1
		.amdhsa_float_round_mode_32 0
		.amdhsa_float_round_mode_16_64 0
		.amdhsa_float_denorm_mode_32 3
		.amdhsa_float_denorm_mode_16_64 3
		.amdhsa_fp16_overflow 0
		.amdhsa_workgroup_processor_mode 1
		.amdhsa_memory_ordered 1
		.amdhsa_forward_progress 1
		.amdhsa_inst_pref_size 19
		.amdhsa_round_robin_scheduling 0
		.amdhsa_exception_fp_ieee_invalid_op 0
		.amdhsa_exception_fp_denorm_src 0
		.amdhsa_exception_fp_ieee_div_zero 0
		.amdhsa_exception_fp_ieee_overflow 0
		.amdhsa_exception_fp_ieee_underflow 0
		.amdhsa_exception_fp_ieee_inexact 0
		.amdhsa_exception_int_div_zero 0
	.end_amdhsa_kernel
	.section	.text._Z6kernelI13subtract_leftLj256ELj32ELb0EJPxS1_jEEvDpT3_,"axG",@progbits,_Z6kernelI13subtract_leftLj256ELj32ELb0EJPxS1_jEEvDpT3_,comdat
.Lfunc_end23:
	.size	_Z6kernelI13subtract_leftLj256ELj32ELb0EJPxS1_jEEvDpT3_, .Lfunc_end23-_Z6kernelI13subtract_leftLj256ELj32ELb0EJPxS1_jEEvDpT3_
                                        ; -- End function
	.set _Z6kernelI13subtract_leftLj256ELj32ELb0EJPxS1_jEEvDpT3_.num_vgpr, 94
	.set _Z6kernelI13subtract_leftLj256ELj32ELb0EJPxS1_jEEvDpT3_.num_agpr, 0
	.set _Z6kernelI13subtract_leftLj256ELj32ELb0EJPxS1_jEEvDpT3_.numbered_sgpr, 8
	.set _Z6kernelI13subtract_leftLj256ELj32ELb0EJPxS1_jEEvDpT3_.num_named_barrier, 0
	.set _Z6kernelI13subtract_leftLj256ELj32ELb0EJPxS1_jEEvDpT3_.private_seg_size, 0
	.set _Z6kernelI13subtract_leftLj256ELj32ELb0EJPxS1_jEEvDpT3_.uses_vcc, 1
	.set _Z6kernelI13subtract_leftLj256ELj32ELb0EJPxS1_jEEvDpT3_.uses_flat_scratch, 0
	.set _Z6kernelI13subtract_leftLj256ELj32ELb0EJPxS1_jEEvDpT3_.has_dyn_sized_stack, 0
	.set _Z6kernelI13subtract_leftLj256ELj32ELb0EJPxS1_jEEvDpT3_.has_recursion, 0
	.set _Z6kernelI13subtract_leftLj256ELj32ELb0EJPxS1_jEEvDpT3_.has_indirect_call, 0
	.section	.AMDGPU.csdata,"",@progbits
; Kernel info:
; codeLenInByte = 2364
; TotalNumSgprs: 10
; NumVgprs: 94
; ScratchSize: 0
; MemoryBound: 0
; FloatMode: 240
; IeeeMode: 1
; LDSByteSize: 4096 bytes/workgroup (compile time only)
; SGPRBlocks: 0
; VGPRBlocks: 11
; NumSGPRsForWavesPerEU: 10
; NumVGPRsForWavesPerEU: 94
; Occupancy: 16
; WaveLimiterHint : 1
; COMPUTE_PGM_RSRC2:SCRATCH_EN: 0
; COMPUTE_PGM_RSRC2:USER_SGPR: 2
; COMPUTE_PGM_RSRC2:TRAP_HANDLER: 0
; COMPUTE_PGM_RSRC2:TGID_X_EN: 1
; COMPUTE_PGM_RSRC2:TGID_Y_EN: 0
; COMPUTE_PGM_RSRC2:TGID_Z_EN: 0
; COMPUTE_PGM_RSRC2:TIDIG_COMP_CNT: 0
	.section	.text._Z6kernelI13subtract_leftLj256ELj1ELb0EJPdS1_jEEvDpT3_,"axG",@progbits,_Z6kernelI13subtract_leftLj256ELj1ELb0EJPdS1_jEEvDpT3_,comdat
	.protected	_Z6kernelI13subtract_leftLj256ELj1ELb0EJPdS1_jEEvDpT3_ ; -- Begin function _Z6kernelI13subtract_leftLj256ELj1ELb0EJPdS1_jEEvDpT3_
	.globl	_Z6kernelI13subtract_leftLj256ELj1ELb0EJPdS1_jEEvDpT3_
	.p2align	8
	.type	_Z6kernelI13subtract_leftLj256ELj1ELb0EJPdS1_jEEvDpT3_,@function
_Z6kernelI13subtract_leftLj256ELj1ELb0EJPdS1_jEEvDpT3_: ; @_Z6kernelI13subtract_leftLj256ELj1ELb0EJPdS1_jEEvDpT3_
; %bb.0:
	s_load_b128 s[4:7], s[0:1], 0x0
	s_lshl_b32 s2, ttmp9, 8
	s_mov_b32 s3, 0
	v_lshlrev_b32_e32 v5, 3, v0
	s_lshl_b64 s[2:3], s[2:3], 3
	s_load_b32 s0, s[0:1], 0x10
	s_wait_kmcnt 0x0
	s_add_nc_u64 s[4:5], s[4:5], s[2:3]
	global_load_b64 v[1:2], v5, s[4:5]
	s_cmp_eq_u32 s0, 0
	s_cbranch_scc1 .LBB24_5
; %bb.1:
	v_cmp_ne_u32_e32 vcc_lo, 0, v0
	v_add_nc_u32_e32 v0, -8, v5
	s_branch .LBB24_3
.LBB24_2:                               ;   in Loop: Header=BB24_3 Depth=1
	s_or_b32 exec_lo, exec_lo, s1
	s_delay_alu instid0(VALU_DEP_1)
	v_add_f64_e32 v[1:2], v[1:2], v[3:4]
	s_add_co_i32 s0, s0, -1
	s_wait_loadcnt 0x0
	s_cmp_lg_u32 s0, 0
	s_barrier_signal -1
	s_barrier_wait -1
	global_inv scope:SCOPE_SE
	s_cbranch_scc0 .LBB24_5
.LBB24_3:                               ; =>This Inner Loop Header: Depth=1
	s_wait_loadcnt 0x0
	v_dual_mov_b32 v4, v2 :: v_dual_mov_b32 v3, v1
	ds_store_b64 v5, v[1:2]
	s_wait_dscnt 0x0
	s_barrier_signal -1
	s_barrier_wait -1
	global_inv scope:SCOPE_SE
	s_and_saveexec_b32 s1, vcc_lo
	s_cbranch_execz .LBB24_2
; %bb.4:                                ;   in Loop: Header=BB24_3 Depth=1
	ds_load_b64 v[3:4], v0
	s_wait_dscnt 0x0
	v_add_f64_e64 v[3:4], v[1:2], -v[3:4]
	s_branch .LBB24_2
.LBB24_5:
	s_add_nc_u64 s[0:1], s[6:7], s[2:3]
	s_wait_loadcnt 0x0
	global_store_b64 v5, v[1:2], s[0:1]
	s_endpgm
	.section	.rodata,"a",@progbits
	.p2align	6, 0x0
	.amdhsa_kernel _Z6kernelI13subtract_leftLj256ELj1ELb0EJPdS1_jEEvDpT3_
		.amdhsa_group_segment_fixed_size 4096
		.amdhsa_private_segment_fixed_size 0
		.amdhsa_kernarg_size 20
		.amdhsa_user_sgpr_count 2
		.amdhsa_user_sgpr_dispatch_ptr 0
		.amdhsa_user_sgpr_queue_ptr 0
		.amdhsa_user_sgpr_kernarg_segment_ptr 1
		.amdhsa_user_sgpr_dispatch_id 0
		.amdhsa_user_sgpr_private_segment_size 0
		.amdhsa_wavefront_size32 1
		.amdhsa_uses_dynamic_stack 0
		.amdhsa_enable_private_segment 0
		.amdhsa_system_sgpr_workgroup_id_x 1
		.amdhsa_system_sgpr_workgroup_id_y 0
		.amdhsa_system_sgpr_workgroup_id_z 0
		.amdhsa_system_sgpr_workgroup_info 0
		.amdhsa_system_vgpr_workitem_id 0
		.amdhsa_next_free_vgpr 6
		.amdhsa_next_free_sgpr 8
		.amdhsa_reserve_vcc 1
		.amdhsa_float_round_mode_32 0
		.amdhsa_float_round_mode_16_64 0
		.amdhsa_float_denorm_mode_32 3
		.amdhsa_float_denorm_mode_16_64 3
		.amdhsa_fp16_overflow 0
		.amdhsa_workgroup_processor_mode 1
		.amdhsa_memory_ordered 1
		.amdhsa_forward_progress 1
		.amdhsa_inst_pref_size 2
		.amdhsa_round_robin_scheduling 0
		.amdhsa_exception_fp_ieee_invalid_op 0
		.amdhsa_exception_fp_denorm_src 0
		.amdhsa_exception_fp_ieee_div_zero 0
		.amdhsa_exception_fp_ieee_overflow 0
		.amdhsa_exception_fp_ieee_underflow 0
		.amdhsa_exception_fp_ieee_inexact 0
		.amdhsa_exception_int_div_zero 0
	.end_amdhsa_kernel
	.section	.text._Z6kernelI13subtract_leftLj256ELj1ELb0EJPdS1_jEEvDpT3_,"axG",@progbits,_Z6kernelI13subtract_leftLj256ELj1ELb0EJPdS1_jEEvDpT3_,comdat
.Lfunc_end24:
	.size	_Z6kernelI13subtract_leftLj256ELj1ELb0EJPdS1_jEEvDpT3_, .Lfunc_end24-_Z6kernelI13subtract_leftLj256ELj1ELb0EJPdS1_jEEvDpT3_
                                        ; -- End function
	.set _Z6kernelI13subtract_leftLj256ELj1ELb0EJPdS1_jEEvDpT3_.num_vgpr, 6
	.set _Z6kernelI13subtract_leftLj256ELj1ELb0EJPdS1_jEEvDpT3_.num_agpr, 0
	.set _Z6kernelI13subtract_leftLj256ELj1ELb0EJPdS1_jEEvDpT3_.numbered_sgpr, 8
	.set _Z6kernelI13subtract_leftLj256ELj1ELb0EJPdS1_jEEvDpT3_.num_named_barrier, 0
	.set _Z6kernelI13subtract_leftLj256ELj1ELb0EJPdS1_jEEvDpT3_.private_seg_size, 0
	.set _Z6kernelI13subtract_leftLj256ELj1ELb0EJPdS1_jEEvDpT3_.uses_vcc, 1
	.set _Z6kernelI13subtract_leftLj256ELj1ELb0EJPdS1_jEEvDpT3_.uses_flat_scratch, 0
	.set _Z6kernelI13subtract_leftLj256ELj1ELb0EJPdS1_jEEvDpT3_.has_dyn_sized_stack, 0
	.set _Z6kernelI13subtract_leftLj256ELj1ELb0EJPdS1_jEEvDpT3_.has_recursion, 0
	.set _Z6kernelI13subtract_leftLj256ELj1ELb0EJPdS1_jEEvDpT3_.has_indirect_call, 0
	.section	.AMDGPU.csdata,"",@progbits
; Kernel info:
; codeLenInByte = 220
; TotalNumSgprs: 10
; NumVgprs: 6
; ScratchSize: 0
; MemoryBound: 0
; FloatMode: 240
; IeeeMode: 1
; LDSByteSize: 4096 bytes/workgroup (compile time only)
; SGPRBlocks: 0
; VGPRBlocks: 0
; NumSGPRsForWavesPerEU: 10
; NumVGPRsForWavesPerEU: 6
; Occupancy: 16
; WaveLimiterHint : 0
; COMPUTE_PGM_RSRC2:SCRATCH_EN: 0
; COMPUTE_PGM_RSRC2:USER_SGPR: 2
; COMPUTE_PGM_RSRC2:TRAP_HANDLER: 0
; COMPUTE_PGM_RSRC2:TGID_X_EN: 1
; COMPUTE_PGM_RSRC2:TGID_Y_EN: 0
; COMPUTE_PGM_RSRC2:TGID_Z_EN: 0
; COMPUTE_PGM_RSRC2:TIDIG_COMP_CNT: 0
	.section	.text._Z6kernelI13subtract_leftLj256ELj3ELb0EJPdS1_jEEvDpT3_,"axG",@progbits,_Z6kernelI13subtract_leftLj256ELj3ELb0EJPdS1_jEEvDpT3_,comdat
	.protected	_Z6kernelI13subtract_leftLj256ELj3ELb0EJPdS1_jEEvDpT3_ ; -- Begin function _Z6kernelI13subtract_leftLj256ELj3ELb0EJPdS1_jEEvDpT3_
	.globl	_Z6kernelI13subtract_leftLj256ELj3ELb0EJPdS1_jEEvDpT3_
	.p2align	8
	.type	_Z6kernelI13subtract_leftLj256ELj3ELb0EJPdS1_jEEvDpT3_,@function
_Z6kernelI13subtract_leftLj256ELj3ELb0EJPdS1_jEEvDpT3_: ; @_Z6kernelI13subtract_leftLj256ELj3ELb0EJPdS1_jEEvDpT3_
; %bb.0:
	s_load_b128 s[4:7], s[0:1], 0x0
	s_mul_i32 s2, ttmp9, 0x300
	s_mov_b32 s3, 0
	v_lshlrev_b32_e32 v9, 3, v0
	s_lshl_b64 s[2:3], s[2:3], 3
	s_load_b32 s0, s[0:1], 0x10
	s_wait_kmcnt 0x0
	s_add_nc_u64 s[4:5], s[4:5], s[2:3]
	s_clause 0x2
	global_load_b64 v[5:6], v9, s[4:5]
	global_load_b64 v[3:4], v9, s[4:5] offset:2048
	global_load_b64 v[1:2], v9, s[4:5] offset:4096
	s_cmp_eq_u32 s0, 0
	s_cbranch_scc1 .LBB25_5
; %bb.1:
	v_cmp_ne_u32_e32 vcc_lo, 0, v0
	v_add_nc_u32_e32 v0, -8, v9
	s_branch .LBB25_3
.LBB25_2:                               ;   in Loop: Header=BB25_3 Depth=1
	s_or_b32 exec_lo, exec_lo, s1
	v_add_f64_e64 v[10:11], v[3:4], -v[5:6]
	v_add_f64_e64 v[12:13], v[1:2], -v[3:4]
	s_delay_alu instid0(VALU_DEP_3)
	v_add_f64_e32 v[5:6], v[5:6], v[7:8]
	s_add_co_i32 s0, s0, -1
	s_wait_loadcnt 0x0
	s_cmp_lg_u32 s0, 0
	s_barrier_signal -1
	s_barrier_wait -1
	global_inv scope:SCOPE_SE
	v_add_f64_e32 v[3:4], v[3:4], v[10:11]
	v_add_f64_e32 v[1:2], v[1:2], v[12:13]
	s_cbranch_scc0 .LBB25_5
.LBB25_3:                               ; =>This Inner Loop Header: Depth=1
	s_wait_loadcnt 0x2
	v_dual_mov_b32 v8, v6 :: v_dual_mov_b32 v7, v5
	s_wait_loadcnt 0x0
	ds_store_b64 v9, v[1:2]
	s_wait_dscnt 0x0
	s_barrier_signal -1
	s_barrier_wait -1
	global_inv scope:SCOPE_SE
	s_and_saveexec_b32 s1, vcc_lo
	s_cbranch_execz .LBB25_2
; %bb.4:                                ;   in Loop: Header=BB25_3 Depth=1
	ds_load_b64 v[7:8], v0
	s_wait_dscnt 0x0
	v_add_f64_e64 v[7:8], v[5:6], -v[7:8]
	s_branch .LBB25_2
.LBB25_5:
	s_add_nc_u64 s[0:1], s[6:7], s[2:3]
	s_wait_loadcnt 0x2
	global_store_b64 v9, v[5:6], s[0:1]
	s_wait_loadcnt 0x1
	global_store_b64 v9, v[3:4], s[0:1] offset:2048
	s_wait_loadcnt 0x0
	global_store_b64 v9, v[1:2], s[0:1] offset:4096
	s_endpgm
	.section	.rodata,"a",@progbits
	.p2align	6, 0x0
	.amdhsa_kernel _Z6kernelI13subtract_leftLj256ELj3ELb0EJPdS1_jEEvDpT3_
		.amdhsa_group_segment_fixed_size 4096
		.amdhsa_private_segment_fixed_size 0
		.amdhsa_kernarg_size 20
		.amdhsa_user_sgpr_count 2
		.amdhsa_user_sgpr_dispatch_ptr 0
		.amdhsa_user_sgpr_queue_ptr 0
		.amdhsa_user_sgpr_kernarg_segment_ptr 1
		.amdhsa_user_sgpr_dispatch_id 0
		.amdhsa_user_sgpr_private_segment_size 0
		.amdhsa_wavefront_size32 1
		.amdhsa_uses_dynamic_stack 0
		.amdhsa_enable_private_segment 0
		.amdhsa_system_sgpr_workgroup_id_x 1
		.amdhsa_system_sgpr_workgroup_id_y 0
		.amdhsa_system_sgpr_workgroup_id_z 0
		.amdhsa_system_sgpr_workgroup_info 0
		.amdhsa_system_vgpr_workitem_id 0
		.amdhsa_next_free_vgpr 14
		.amdhsa_next_free_sgpr 8
		.amdhsa_reserve_vcc 1
		.amdhsa_float_round_mode_32 0
		.amdhsa_float_round_mode_16_64 0
		.amdhsa_float_denorm_mode_32 3
		.amdhsa_float_denorm_mode_16_64 3
		.amdhsa_fp16_overflow 0
		.amdhsa_workgroup_processor_mode 1
		.amdhsa_memory_ordered 1
		.amdhsa_forward_progress 1
		.amdhsa_inst_pref_size 3
		.amdhsa_round_robin_scheduling 0
		.amdhsa_exception_fp_ieee_invalid_op 0
		.amdhsa_exception_fp_denorm_src 0
		.amdhsa_exception_fp_ieee_div_zero 0
		.amdhsa_exception_fp_ieee_overflow 0
		.amdhsa_exception_fp_ieee_underflow 0
		.amdhsa_exception_fp_ieee_inexact 0
		.amdhsa_exception_int_div_zero 0
	.end_amdhsa_kernel
	.section	.text._Z6kernelI13subtract_leftLj256ELj3ELb0EJPdS1_jEEvDpT3_,"axG",@progbits,_Z6kernelI13subtract_leftLj256ELj3ELb0EJPdS1_jEEvDpT3_,comdat
.Lfunc_end25:
	.size	_Z6kernelI13subtract_leftLj256ELj3ELb0EJPdS1_jEEvDpT3_, .Lfunc_end25-_Z6kernelI13subtract_leftLj256ELj3ELb0EJPdS1_jEEvDpT3_
                                        ; -- End function
	.set _Z6kernelI13subtract_leftLj256ELj3ELb0EJPdS1_jEEvDpT3_.num_vgpr, 14
	.set _Z6kernelI13subtract_leftLj256ELj3ELb0EJPdS1_jEEvDpT3_.num_agpr, 0
	.set _Z6kernelI13subtract_leftLj256ELj3ELb0EJPdS1_jEEvDpT3_.numbered_sgpr, 8
	.set _Z6kernelI13subtract_leftLj256ELj3ELb0EJPdS1_jEEvDpT3_.num_named_barrier, 0
	.set _Z6kernelI13subtract_leftLj256ELj3ELb0EJPdS1_jEEvDpT3_.private_seg_size, 0
	.set _Z6kernelI13subtract_leftLj256ELj3ELb0EJPdS1_jEEvDpT3_.uses_vcc, 1
	.set _Z6kernelI13subtract_leftLj256ELj3ELb0EJPdS1_jEEvDpT3_.uses_flat_scratch, 0
	.set _Z6kernelI13subtract_leftLj256ELj3ELb0EJPdS1_jEEvDpT3_.has_dyn_sized_stack, 0
	.set _Z6kernelI13subtract_leftLj256ELj3ELb0EJPdS1_jEEvDpT3_.has_recursion, 0
	.set _Z6kernelI13subtract_leftLj256ELj3ELb0EJPdS1_jEEvDpT3_.has_indirect_call, 0
	.section	.AMDGPU.csdata,"",@progbits
; Kernel info:
; codeLenInByte = 312
; TotalNumSgprs: 10
; NumVgprs: 14
; ScratchSize: 0
; MemoryBound: 0
; FloatMode: 240
; IeeeMode: 1
; LDSByteSize: 4096 bytes/workgroup (compile time only)
; SGPRBlocks: 0
; VGPRBlocks: 1
; NumSGPRsForWavesPerEU: 10
; NumVGPRsForWavesPerEU: 14
; Occupancy: 16
; WaveLimiterHint : 1
; COMPUTE_PGM_RSRC2:SCRATCH_EN: 0
; COMPUTE_PGM_RSRC2:USER_SGPR: 2
; COMPUTE_PGM_RSRC2:TRAP_HANDLER: 0
; COMPUTE_PGM_RSRC2:TGID_X_EN: 1
; COMPUTE_PGM_RSRC2:TGID_Y_EN: 0
; COMPUTE_PGM_RSRC2:TGID_Z_EN: 0
; COMPUTE_PGM_RSRC2:TIDIG_COMP_CNT: 0
	.section	.text._Z6kernelI13subtract_leftLj256ELj4ELb0EJPdS1_jEEvDpT3_,"axG",@progbits,_Z6kernelI13subtract_leftLj256ELj4ELb0EJPdS1_jEEvDpT3_,comdat
	.protected	_Z6kernelI13subtract_leftLj256ELj4ELb0EJPdS1_jEEvDpT3_ ; -- Begin function _Z6kernelI13subtract_leftLj256ELj4ELb0EJPdS1_jEEvDpT3_
	.globl	_Z6kernelI13subtract_leftLj256ELj4ELb0EJPdS1_jEEvDpT3_
	.p2align	8
	.type	_Z6kernelI13subtract_leftLj256ELj4ELb0EJPdS1_jEEvDpT3_,@function
_Z6kernelI13subtract_leftLj256ELj4ELb0EJPdS1_jEEvDpT3_: ; @_Z6kernelI13subtract_leftLj256ELj4ELb0EJPdS1_jEEvDpT3_
; %bb.0:
	s_load_b128 s[4:7], s[0:1], 0x0
	s_lshl_b32 s2, ttmp9, 10
	s_mov_b32 s3, 0
	v_lshlrev_b32_e32 v11, 3, v0
	s_lshl_b64 s[2:3], s[2:3], 3
	s_load_b32 s0, s[0:1], 0x10
	s_wait_kmcnt 0x0
	s_add_nc_u64 s[4:5], s[4:5], s[2:3]
	s_clause 0x3
	global_load_b64 v[7:8], v11, s[4:5]
	global_load_b64 v[5:6], v11, s[4:5] offset:2048
	global_load_b64 v[3:4], v11, s[4:5] offset:4096
	;; [unrolled: 1-line block ×3, first 2 shown]
	s_cmp_eq_u32 s0, 0
	s_cbranch_scc1 .LBB26_5
; %bb.1:
	v_cmp_ne_u32_e32 vcc_lo, 0, v0
	v_add_nc_u32_e32 v0, -8, v11
	s_branch .LBB26_3
.LBB26_2:                               ;   in Loop: Header=BB26_3 Depth=1
	s_or_b32 exec_lo, exec_lo, s1
	v_add_f64_e64 v[12:13], v[5:6], -v[7:8]
	v_add_f64_e64 v[14:15], v[3:4], -v[5:6]
	;; [unrolled: 1-line block ×3, first 2 shown]
	s_delay_alu instid0(VALU_DEP_4)
	v_add_f64_e32 v[7:8], v[7:8], v[9:10]
	s_add_co_i32 s0, s0, -1
	s_wait_loadcnt 0x0
	s_cmp_lg_u32 s0, 0
	s_barrier_signal -1
	s_barrier_wait -1
	global_inv scope:SCOPE_SE
	v_add_f64_e32 v[5:6], v[5:6], v[12:13]
	v_add_f64_e32 v[3:4], v[3:4], v[14:15]
	;; [unrolled: 1-line block ×3, first 2 shown]
	s_cbranch_scc0 .LBB26_5
.LBB26_3:                               ; =>This Inner Loop Header: Depth=1
	s_wait_loadcnt 0x3
	v_dual_mov_b32 v10, v8 :: v_dual_mov_b32 v9, v7
	s_wait_loadcnt 0x0
	ds_store_b64 v11, v[1:2]
	s_wait_dscnt 0x0
	s_barrier_signal -1
	s_barrier_wait -1
	global_inv scope:SCOPE_SE
	s_and_saveexec_b32 s1, vcc_lo
	s_cbranch_execz .LBB26_2
; %bb.4:                                ;   in Loop: Header=BB26_3 Depth=1
	ds_load_b64 v[9:10], v0
	s_wait_dscnt 0x0
	v_add_f64_e64 v[9:10], v[7:8], -v[9:10]
	s_branch .LBB26_2
.LBB26_5:
	s_add_nc_u64 s[0:1], s[6:7], s[2:3]
	s_wait_loadcnt 0x3
	global_store_b64 v11, v[7:8], s[0:1]
	s_wait_loadcnt 0x2
	global_store_b64 v11, v[5:6], s[0:1] offset:2048
	s_wait_loadcnt 0x1
	global_store_b64 v11, v[3:4], s[0:1] offset:4096
	;; [unrolled: 2-line block ×3, first 2 shown]
	s_endpgm
	.section	.rodata,"a",@progbits
	.p2align	6, 0x0
	.amdhsa_kernel _Z6kernelI13subtract_leftLj256ELj4ELb0EJPdS1_jEEvDpT3_
		.amdhsa_group_segment_fixed_size 4096
		.amdhsa_private_segment_fixed_size 0
		.amdhsa_kernarg_size 20
		.amdhsa_user_sgpr_count 2
		.amdhsa_user_sgpr_dispatch_ptr 0
		.amdhsa_user_sgpr_queue_ptr 0
		.amdhsa_user_sgpr_kernarg_segment_ptr 1
		.amdhsa_user_sgpr_dispatch_id 0
		.amdhsa_user_sgpr_private_segment_size 0
		.amdhsa_wavefront_size32 1
		.amdhsa_uses_dynamic_stack 0
		.amdhsa_enable_private_segment 0
		.amdhsa_system_sgpr_workgroup_id_x 1
		.amdhsa_system_sgpr_workgroup_id_y 0
		.amdhsa_system_sgpr_workgroup_id_z 0
		.amdhsa_system_sgpr_workgroup_info 0
		.amdhsa_system_vgpr_workitem_id 0
		.amdhsa_next_free_vgpr 18
		.amdhsa_next_free_sgpr 8
		.amdhsa_reserve_vcc 1
		.amdhsa_float_round_mode_32 0
		.amdhsa_float_round_mode_16_64 0
		.amdhsa_float_denorm_mode_32 3
		.amdhsa_float_denorm_mode_16_64 3
		.amdhsa_fp16_overflow 0
		.amdhsa_workgroup_processor_mode 1
		.amdhsa_memory_ordered 1
		.amdhsa_forward_progress 1
		.amdhsa_inst_pref_size 3
		.amdhsa_round_robin_scheduling 0
		.amdhsa_exception_fp_ieee_invalid_op 0
		.amdhsa_exception_fp_denorm_src 0
		.amdhsa_exception_fp_ieee_div_zero 0
		.amdhsa_exception_fp_ieee_overflow 0
		.amdhsa_exception_fp_ieee_underflow 0
		.amdhsa_exception_fp_ieee_inexact 0
		.amdhsa_exception_int_div_zero 0
	.end_amdhsa_kernel
	.section	.text._Z6kernelI13subtract_leftLj256ELj4ELb0EJPdS1_jEEvDpT3_,"axG",@progbits,_Z6kernelI13subtract_leftLj256ELj4ELb0EJPdS1_jEEvDpT3_,comdat
.Lfunc_end26:
	.size	_Z6kernelI13subtract_leftLj256ELj4ELb0EJPdS1_jEEvDpT3_, .Lfunc_end26-_Z6kernelI13subtract_leftLj256ELj4ELb0EJPdS1_jEEvDpT3_
                                        ; -- End function
	.set _Z6kernelI13subtract_leftLj256ELj4ELb0EJPdS1_jEEvDpT3_.num_vgpr, 18
	.set _Z6kernelI13subtract_leftLj256ELj4ELb0EJPdS1_jEEvDpT3_.num_agpr, 0
	.set _Z6kernelI13subtract_leftLj256ELj4ELb0EJPdS1_jEEvDpT3_.numbered_sgpr, 8
	.set _Z6kernelI13subtract_leftLj256ELj4ELb0EJPdS1_jEEvDpT3_.num_named_barrier, 0
	.set _Z6kernelI13subtract_leftLj256ELj4ELb0EJPdS1_jEEvDpT3_.private_seg_size, 0
	.set _Z6kernelI13subtract_leftLj256ELj4ELb0EJPdS1_jEEvDpT3_.uses_vcc, 1
	.set _Z6kernelI13subtract_leftLj256ELj4ELb0EJPdS1_jEEvDpT3_.uses_flat_scratch, 0
	.set _Z6kernelI13subtract_leftLj256ELj4ELb0EJPdS1_jEEvDpT3_.has_dyn_sized_stack, 0
	.set _Z6kernelI13subtract_leftLj256ELj4ELb0EJPdS1_jEEvDpT3_.has_recursion, 0
	.set _Z6kernelI13subtract_leftLj256ELj4ELb0EJPdS1_jEEvDpT3_.has_indirect_call, 0
	.section	.AMDGPU.csdata,"",@progbits
; Kernel info:
; codeLenInByte = 348
; TotalNumSgprs: 10
; NumVgprs: 18
; ScratchSize: 0
; MemoryBound: 0
; FloatMode: 240
; IeeeMode: 1
; LDSByteSize: 4096 bytes/workgroup (compile time only)
; SGPRBlocks: 0
; VGPRBlocks: 2
; NumSGPRsForWavesPerEU: 10
; NumVGPRsForWavesPerEU: 18
; Occupancy: 16
; WaveLimiterHint : 1
; COMPUTE_PGM_RSRC2:SCRATCH_EN: 0
; COMPUTE_PGM_RSRC2:USER_SGPR: 2
; COMPUTE_PGM_RSRC2:TRAP_HANDLER: 0
; COMPUTE_PGM_RSRC2:TGID_X_EN: 1
; COMPUTE_PGM_RSRC2:TGID_Y_EN: 0
; COMPUTE_PGM_RSRC2:TGID_Z_EN: 0
; COMPUTE_PGM_RSRC2:TIDIG_COMP_CNT: 0
	.section	.text._Z6kernelI13subtract_leftLj256ELj8ELb0EJPdS1_jEEvDpT3_,"axG",@progbits,_Z6kernelI13subtract_leftLj256ELj8ELb0EJPdS1_jEEvDpT3_,comdat
	.protected	_Z6kernelI13subtract_leftLj256ELj8ELb0EJPdS1_jEEvDpT3_ ; -- Begin function _Z6kernelI13subtract_leftLj256ELj8ELb0EJPdS1_jEEvDpT3_
	.globl	_Z6kernelI13subtract_leftLj256ELj8ELb0EJPdS1_jEEvDpT3_
	.p2align	8
	.type	_Z6kernelI13subtract_leftLj256ELj8ELb0EJPdS1_jEEvDpT3_,@function
_Z6kernelI13subtract_leftLj256ELj8ELb0EJPdS1_jEEvDpT3_: ; @_Z6kernelI13subtract_leftLj256ELj8ELb0EJPdS1_jEEvDpT3_
; %bb.0:
	s_load_b128 s[4:7], s[0:1], 0x0
	s_lshl_b32 s2, ttmp9, 11
	s_mov_b32 s3, 0
	v_lshlrev_b32_e32 v19, 3, v0
	s_lshl_b64 s[2:3], s[2:3], 3
	s_load_b32 s0, s[0:1], 0x10
	s_wait_kmcnt 0x0
	s_add_nc_u64 s[4:5], s[4:5], s[2:3]
	s_clause 0x7
	global_load_b64 v[15:16], v19, s[4:5]
	global_load_b64 v[13:14], v19, s[4:5] offset:2048
	global_load_b64 v[11:12], v19, s[4:5] offset:4096
	;; [unrolled: 1-line block ×7, first 2 shown]
	s_cmp_eq_u32 s0, 0
	s_cbranch_scc1 .LBB27_5
; %bb.1:
	v_cmp_ne_u32_e32 vcc_lo, 0, v0
	v_add_nc_u32_e32 v0, -8, v19
	s_branch .LBB27_3
.LBB27_2:                               ;   in Loop: Header=BB27_3 Depth=1
	s_or_b32 exec_lo, exec_lo, s1
	v_add_f64_e64 v[20:21], v[13:14], -v[15:16]
	v_add_f64_e64 v[22:23], v[11:12], -v[13:14]
	;; [unrolled: 1-line block ×7, first 2 shown]
	v_add_f64_e32 v[15:16], v[15:16], v[17:18]
	s_add_co_i32 s0, s0, -1
	s_wait_loadcnt 0x0
	s_cmp_lg_u32 s0, 0
	s_barrier_signal -1
	s_barrier_wait -1
	global_inv scope:SCOPE_SE
	v_add_f64_e32 v[13:14], v[13:14], v[20:21]
	v_add_f64_e32 v[11:12], v[11:12], v[22:23]
	;; [unrolled: 1-line block ×7, first 2 shown]
	s_cbranch_scc0 .LBB27_5
.LBB27_3:                               ; =>This Inner Loop Header: Depth=1
	s_wait_loadcnt 0x7
	v_dual_mov_b32 v18, v16 :: v_dual_mov_b32 v17, v15
	s_wait_loadcnt 0x0
	ds_store_b64 v19, v[1:2]
	s_wait_dscnt 0x0
	s_barrier_signal -1
	s_barrier_wait -1
	global_inv scope:SCOPE_SE
	s_and_saveexec_b32 s1, vcc_lo
	s_cbranch_execz .LBB27_2
; %bb.4:                                ;   in Loop: Header=BB27_3 Depth=1
	ds_load_b64 v[17:18], v0
	s_wait_dscnt 0x0
	v_add_f64_e64 v[17:18], v[15:16], -v[17:18]
	s_branch .LBB27_2
.LBB27_5:
	s_add_nc_u64 s[0:1], s[6:7], s[2:3]
	s_wait_loadcnt 0x7
	global_store_b64 v19, v[15:16], s[0:1]
	s_wait_loadcnt 0x6
	global_store_b64 v19, v[13:14], s[0:1] offset:2048
	s_wait_loadcnt 0x5
	global_store_b64 v19, v[11:12], s[0:1] offset:4096
	;; [unrolled: 2-line block ×7, first 2 shown]
	s_endpgm
	.section	.rodata,"a",@progbits
	.p2align	6, 0x0
	.amdhsa_kernel _Z6kernelI13subtract_leftLj256ELj8ELb0EJPdS1_jEEvDpT3_
		.amdhsa_group_segment_fixed_size 4096
		.amdhsa_private_segment_fixed_size 0
		.amdhsa_kernarg_size 20
		.amdhsa_user_sgpr_count 2
		.amdhsa_user_sgpr_dispatch_ptr 0
		.amdhsa_user_sgpr_queue_ptr 0
		.amdhsa_user_sgpr_kernarg_segment_ptr 1
		.amdhsa_user_sgpr_dispatch_id 0
		.amdhsa_user_sgpr_private_segment_size 0
		.amdhsa_wavefront_size32 1
		.amdhsa_uses_dynamic_stack 0
		.amdhsa_enable_private_segment 0
		.amdhsa_system_sgpr_workgroup_id_x 1
		.amdhsa_system_sgpr_workgroup_id_y 0
		.amdhsa_system_sgpr_workgroup_id_z 0
		.amdhsa_system_sgpr_workgroup_info 0
		.amdhsa_system_vgpr_workitem_id 0
		.amdhsa_next_free_vgpr 34
		.amdhsa_next_free_sgpr 8
		.amdhsa_reserve_vcc 1
		.amdhsa_float_round_mode_32 0
		.amdhsa_float_round_mode_16_64 0
		.amdhsa_float_denorm_mode_32 3
		.amdhsa_float_denorm_mode_16_64 3
		.amdhsa_fp16_overflow 0
		.amdhsa_workgroup_processor_mode 1
		.amdhsa_memory_ordered 1
		.amdhsa_forward_progress 1
		.amdhsa_inst_pref_size 4
		.amdhsa_round_robin_scheduling 0
		.amdhsa_exception_fp_ieee_invalid_op 0
		.amdhsa_exception_fp_denorm_src 0
		.amdhsa_exception_fp_ieee_div_zero 0
		.amdhsa_exception_fp_ieee_overflow 0
		.amdhsa_exception_fp_ieee_underflow 0
		.amdhsa_exception_fp_ieee_inexact 0
		.amdhsa_exception_int_div_zero 0
	.end_amdhsa_kernel
	.section	.text._Z6kernelI13subtract_leftLj256ELj8ELb0EJPdS1_jEEvDpT3_,"axG",@progbits,_Z6kernelI13subtract_leftLj256ELj8ELb0EJPdS1_jEEvDpT3_,comdat
.Lfunc_end27:
	.size	_Z6kernelI13subtract_leftLj256ELj8ELb0EJPdS1_jEEvDpT3_, .Lfunc_end27-_Z6kernelI13subtract_leftLj256ELj8ELb0EJPdS1_jEEvDpT3_
                                        ; -- End function
	.set _Z6kernelI13subtract_leftLj256ELj8ELb0EJPdS1_jEEvDpT3_.num_vgpr, 34
	.set _Z6kernelI13subtract_leftLj256ELj8ELb0EJPdS1_jEEvDpT3_.num_agpr, 0
	.set _Z6kernelI13subtract_leftLj256ELj8ELb0EJPdS1_jEEvDpT3_.numbered_sgpr, 8
	.set _Z6kernelI13subtract_leftLj256ELj8ELb0EJPdS1_jEEvDpT3_.num_named_barrier, 0
	.set _Z6kernelI13subtract_leftLj256ELj8ELb0EJPdS1_jEEvDpT3_.private_seg_size, 0
	.set _Z6kernelI13subtract_leftLj256ELj8ELb0EJPdS1_jEEvDpT3_.uses_vcc, 1
	.set _Z6kernelI13subtract_leftLj256ELj8ELb0EJPdS1_jEEvDpT3_.uses_flat_scratch, 0
	.set _Z6kernelI13subtract_leftLj256ELj8ELb0EJPdS1_jEEvDpT3_.has_dyn_sized_stack, 0
	.set _Z6kernelI13subtract_leftLj256ELj8ELb0EJPdS1_jEEvDpT3_.has_recursion, 0
	.set _Z6kernelI13subtract_leftLj256ELj8ELb0EJPdS1_jEEvDpT3_.has_indirect_call, 0
	.section	.AMDGPU.csdata,"",@progbits
; Kernel info:
; codeLenInByte = 504
; TotalNumSgprs: 10
; NumVgprs: 34
; ScratchSize: 0
; MemoryBound: 0
; FloatMode: 240
; IeeeMode: 1
; LDSByteSize: 4096 bytes/workgroup (compile time only)
; SGPRBlocks: 0
; VGPRBlocks: 4
; NumSGPRsForWavesPerEU: 10
; NumVGPRsForWavesPerEU: 34
; Occupancy: 16
; WaveLimiterHint : 1
; COMPUTE_PGM_RSRC2:SCRATCH_EN: 0
; COMPUTE_PGM_RSRC2:USER_SGPR: 2
; COMPUTE_PGM_RSRC2:TRAP_HANDLER: 0
; COMPUTE_PGM_RSRC2:TGID_X_EN: 1
; COMPUTE_PGM_RSRC2:TGID_Y_EN: 0
; COMPUTE_PGM_RSRC2:TGID_Z_EN: 0
; COMPUTE_PGM_RSRC2:TIDIG_COMP_CNT: 0
	.section	.text._Z6kernelI13subtract_leftLj256ELj16ELb0EJPdS1_jEEvDpT3_,"axG",@progbits,_Z6kernelI13subtract_leftLj256ELj16ELb0EJPdS1_jEEvDpT3_,comdat
	.protected	_Z6kernelI13subtract_leftLj256ELj16ELb0EJPdS1_jEEvDpT3_ ; -- Begin function _Z6kernelI13subtract_leftLj256ELj16ELb0EJPdS1_jEEvDpT3_
	.globl	_Z6kernelI13subtract_leftLj256ELj16ELb0EJPdS1_jEEvDpT3_
	.p2align	8
	.type	_Z6kernelI13subtract_leftLj256ELj16ELb0EJPdS1_jEEvDpT3_,@function
_Z6kernelI13subtract_leftLj256ELj16ELb0EJPdS1_jEEvDpT3_: ; @_Z6kernelI13subtract_leftLj256ELj16ELb0EJPdS1_jEEvDpT3_
; %bb.0:
	s_load_b128 s[4:7], s[0:1], 0x0
	s_lshl_b32 s2, ttmp9, 12
	s_mov_b32 s3, 0
	v_lshlrev_b32_e32 v35, 3, v0
	s_lshl_b64 s[2:3], s[2:3], 3
	s_load_b32 s0, s[0:1], 0x10
	s_wait_kmcnt 0x0
	s_add_nc_u64 s[4:5], s[4:5], s[2:3]
	s_clause 0xf
	global_load_b64 v[31:32], v35, s[4:5]
	global_load_b64 v[29:30], v35, s[4:5] offset:2048
	global_load_b64 v[27:28], v35, s[4:5] offset:4096
	;; [unrolled: 1-line block ×15, first 2 shown]
	s_cmp_eq_u32 s0, 0
	s_cbranch_scc1 .LBB28_5
; %bb.1:
	v_cmp_ne_u32_e32 vcc_lo, 0, v0
	v_add_nc_u32_e32 v0, -8, v35
	s_branch .LBB28_3
.LBB28_2:                               ;   in Loop: Header=BB28_3 Depth=1
	s_or_b32 exec_lo, exec_lo, s1
	v_add_f64_e64 v[36:37], v[29:30], -v[31:32]
	v_add_f64_e64 v[38:39], v[27:28], -v[29:30]
	;; [unrolled: 1-line block ×15, first 2 shown]
	v_add_f64_e32 v[31:32], v[31:32], v[33:34]
	s_add_co_i32 s0, s0, -1
	s_wait_loadcnt 0x0
	s_cmp_lg_u32 s0, 0
	s_barrier_signal -1
	s_barrier_wait -1
	global_inv scope:SCOPE_SE
	v_add_f64_e32 v[29:30], v[29:30], v[36:37]
	v_add_f64_e32 v[27:28], v[27:28], v[38:39]
	v_add_f64_e32 v[25:26], v[25:26], v[40:41]
	v_add_f64_e32 v[23:24], v[23:24], v[42:43]
	v_add_f64_e32 v[21:22], v[21:22], v[44:45]
	v_add_f64_e32 v[19:20], v[19:20], v[46:47]
	v_add_f64_e32 v[17:18], v[17:18], v[48:49]
	v_add_f64_e32 v[15:16], v[15:16], v[50:51]
	v_add_f64_e32 v[13:14], v[13:14], v[52:53]
	v_add_f64_e32 v[11:12], v[11:12], v[54:55]
	v_add_f64_e32 v[9:10], v[9:10], v[56:57]
	v_add_f64_e32 v[7:8], v[7:8], v[58:59]
	v_add_f64_e32 v[5:6], v[5:6], v[60:61]
	v_add_f64_e32 v[3:4], v[3:4], v[62:63]
	v_add_f64_e32 v[1:2], v[1:2], v[64:65]
	s_cbranch_scc0 .LBB28_5
.LBB28_3:                               ; =>This Inner Loop Header: Depth=1
	s_wait_loadcnt 0xf
	v_dual_mov_b32 v34, v32 :: v_dual_mov_b32 v33, v31
	s_wait_loadcnt 0x0
	ds_store_b64 v35, v[1:2]
	s_wait_dscnt 0x0
	s_barrier_signal -1
	s_barrier_wait -1
	global_inv scope:SCOPE_SE
	s_and_saveexec_b32 s1, vcc_lo
	s_cbranch_execz .LBB28_2
; %bb.4:                                ;   in Loop: Header=BB28_3 Depth=1
	ds_load_b64 v[33:34], v0
	s_wait_dscnt 0x0
	v_add_f64_e64 v[33:34], v[31:32], -v[33:34]
	s_branch .LBB28_2
.LBB28_5:
	s_add_nc_u64 s[0:1], s[6:7], s[2:3]
	s_wait_loadcnt 0xf
	global_store_b64 v35, v[31:32], s[0:1]
	s_wait_loadcnt 0xe
	global_store_b64 v35, v[29:30], s[0:1] offset:2048
	s_wait_loadcnt 0xd
	global_store_b64 v35, v[27:28], s[0:1] offset:4096
	;; [unrolled: 2-line block ×15, first 2 shown]
	s_endpgm
	.section	.rodata,"a",@progbits
	.p2align	6, 0x0
	.amdhsa_kernel _Z6kernelI13subtract_leftLj256ELj16ELb0EJPdS1_jEEvDpT3_
		.amdhsa_group_segment_fixed_size 4096
		.amdhsa_private_segment_fixed_size 0
		.amdhsa_kernarg_size 20
		.amdhsa_user_sgpr_count 2
		.amdhsa_user_sgpr_dispatch_ptr 0
		.amdhsa_user_sgpr_queue_ptr 0
		.amdhsa_user_sgpr_kernarg_segment_ptr 1
		.amdhsa_user_sgpr_dispatch_id 0
		.amdhsa_user_sgpr_private_segment_size 0
		.amdhsa_wavefront_size32 1
		.amdhsa_uses_dynamic_stack 0
		.amdhsa_enable_private_segment 0
		.amdhsa_system_sgpr_workgroup_id_x 1
		.amdhsa_system_sgpr_workgroup_id_y 0
		.amdhsa_system_sgpr_workgroup_id_z 0
		.amdhsa_system_sgpr_workgroup_info 0
		.amdhsa_system_vgpr_workitem_id 0
		.amdhsa_next_free_vgpr 66
		.amdhsa_next_free_sgpr 8
		.amdhsa_reserve_vcc 1
		.amdhsa_float_round_mode_32 0
		.amdhsa_float_round_mode_16_64 0
		.amdhsa_float_denorm_mode_32 3
		.amdhsa_float_denorm_mode_16_64 3
		.amdhsa_fp16_overflow 0
		.amdhsa_workgroup_processor_mode 1
		.amdhsa_memory_ordered 1
		.amdhsa_forward_progress 1
		.amdhsa_inst_pref_size 7
		.amdhsa_round_robin_scheduling 0
		.amdhsa_exception_fp_ieee_invalid_op 0
		.amdhsa_exception_fp_denorm_src 0
		.amdhsa_exception_fp_ieee_div_zero 0
		.amdhsa_exception_fp_ieee_overflow 0
		.amdhsa_exception_fp_ieee_underflow 0
		.amdhsa_exception_fp_ieee_inexact 0
		.amdhsa_exception_int_div_zero 0
	.end_amdhsa_kernel
	.section	.text._Z6kernelI13subtract_leftLj256ELj16ELb0EJPdS1_jEEvDpT3_,"axG",@progbits,_Z6kernelI13subtract_leftLj256ELj16ELb0EJPdS1_jEEvDpT3_,comdat
.Lfunc_end28:
	.size	_Z6kernelI13subtract_leftLj256ELj16ELb0EJPdS1_jEEvDpT3_, .Lfunc_end28-_Z6kernelI13subtract_leftLj256ELj16ELb0EJPdS1_jEEvDpT3_
                                        ; -- End function
	.set _Z6kernelI13subtract_leftLj256ELj16ELb0EJPdS1_jEEvDpT3_.num_vgpr, 66
	.set _Z6kernelI13subtract_leftLj256ELj16ELb0EJPdS1_jEEvDpT3_.num_agpr, 0
	.set _Z6kernelI13subtract_leftLj256ELj16ELb0EJPdS1_jEEvDpT3_.numbered_sgpr, 8
	.set _Z6kernelI13subtract_leftLj256ELj16ELb0EJPdS1_jEEvDpT3_.num_named_barrier, 0
	.set _Z6kernelI13subtract_leftLj256ELj16ELb0EJPdS1_jEEvDpT3_.private_seg_size, 0
	.set _Z6kernelI13subtract_leftLj256ELj16ELb0EJPdS1_jEEvDpT3_.uses_vcc, 1
	.set _Z6kernelI13subtract_leftLj256ELj16ELb0EJPdS1_jEEvDpT3_.uses_flat_scratch, 0
	.set _Z6kernelI13subtract_leftLj256ELj16ELb0EJPdS1_jEEvDpT3_.has_dyn_sized_stack, 0
	.set _Z6kernelI13subtract_leftLj256ELj16ELb0EJPdS1_jEEvDpT3_.has_recursion, 0
	.set _Z6kernelI13subtract_leftLj256ELj16ELb0EJPdS1_jEEvDpT3_.has_indirect_call, 0
	.section	.AMDGPU.csdata,"",@progbits
; Kernel info:
; codeLenInByte = 824
; TotalNumSgprs: 10
; NumVgprs: 66
; ScratchSize: 0
; MemoryBound: 0
; FloatMode: 240
; IeeeMode: 1
; LDSByteSize: 4096 bytes/workgroup (compile time only)
; SGPRBlocks: 0
; VGPRBlocks: 8
; NumSGPRsForWavesPerEU: 10
; NumVGPRsForWavesPerEU: 66
; Occupancy: 16
; WaveLimiterHint : 1
; COMPUTE_PGM_RSRC2:SCRATCH_EN: 0
; COMPUTE_PGM_RSRC2:USER_SGPR: 2
; COMPUTE_PGM_RSRC2:TRAP_HANDLER: 0
; COMPUTE_PGM_RSRC2:TGID_X_EN: 1
; COMPUTE_PGM_RSRC2:TGID_Y_EN: 0
; COMPUTE_PGM_RSRC2:TGID_Z_EN: 0
; COMPUTE_PGM_RSRC2:TIDIG_COMP_CNT: 0
	.section	.text._Z6kernelI13subtract_leftLj256ELj32ELb0EJPdS1_jEEvDpT3_,"axG",@progbits,_Z6kernelI13subtract_leftLj256ELj32ELb0EJPdS1_jEEvDpT3_,comdat
	.protected	_Z6kernelI13subtract_leftLj256ELj32ELb0EJPdS1_jEEvDpT3_ ; -- Begin function _Z6kernelI13subtract_leftLj256ELj32ELb0EJPdS1_jEEvDpT3_
	.globl	_Z6kernelI13subtract_leftLj256ELj32ELb0EJPdS1_jEEvDpT3_
	.p2align	8
	.type	_Z6kernelI13subtract_leftLj256ELj32ELb0EJPdS1_jEEvDpT3_,@function
_Z6kernelI13subtract_leftLj256ELj32ELb0EJPdS1_jEEvDpT3_: ; @_Z6kernelI13subtract_leftLj256ELj32ELb0EJPdS1_jEEvDpT3_
; %bb.0:
	s_load_b128 s[4:7], s[0:1], 0x0
	s_lshl_b32 s2, ttmp9, 13
	s_mov_b32 s3, 0
	v_lshlrev_b32_e32 v67, 3, v0
	s_lshl_b64 s[2:3], s[2:3], 3
	s_load_b32 s0, s[0:1], 0x10
	s_wait_kmcnt 0x0
	s_add_nc_u64 s[4:5], s[4:5], s[2:3]
	s_clause 0x1f
	global_load_b64 v[63:64], v67, s[4:5]
	global_load_b64 v[61:62], v67, s[4:5] offset:2048
	global_load_b64 v[59:60], v67, s[4:5] offset:4096
	;; [unrolled: 1-line block ×31, first 2 shown]
	s_cmp_eq_u32 s0, 0
	s_cbranch_scc1 .LBB29_5
; %bb.1:
	v_cmp_ne_u32_e32 vcc_lo, 0, v0
	v_add_nc_u32_e32 v0, -8, v67
	s_branch .LBB29_3
.LBB29_2:                               ;   in Loop: Header=BB29_3 Depth=1
	s_or_b32 exec_lo, exec_lo, s1
	v_add_f64_e64 v[68:69], v[61:62], -v[63:64]
	v_add_f64_e64 v[70:71], v[59:60], -v[61:62]
	;; [unrolled: 1-line block ×13, first 2 shown]
	v_add_f64_e32 v[63:64], v[63:64], v[65:66]
	v_add_f64_e64 v[65:66], v[35:36], -v[37:38]
	s_add_co_i32 s0, s0, -1
	s_wait_loadcnt 0x0
	s_cmp_lg_u32 s0, 0
	s_barrier_signal -1
	s_barrier_wait -1
	global_inv scope:SCOPE_SE
	v_add_f64_e32 v[61:62], v[61:62], v[68:69]
	v_add_f64_e64 v[68:69], v[33:34], -v[35:36]
	v_add_f64_e32 v[59:60], v[59:60], v[70:71]
	v_add_f64_e64 v[70:71], v[31:32], -v[33:34]
	;; [unrolled: 2-line block ×17, first 2 shown]
	v_add_f64_e32 v[3:4], v[3:4], v[74:75]
	v_add_f64_e32 v[7:8], v[7:8], v[76:77]
	;; [unrolled: 1-line block ×14, first 2 shown]
	s_cbranch_scc0 .LBB29_5
.LBB29_3:                               ; =>This Inner Loop Header: Depth=1
	s_wait_loadcnt 0x1f
	v_dual_mov_b32 v66, v64 :: v_dual_mov_b32 v65, v63
	s_wait_loadcnt 0x0
	ds_store_b64 v67, v[1:2]
	s_wait_dscnt 0x0
	s_barrier_signal -1
	s_barrier_wait -1
	global_inv scope:SCOPE_SE
	s_and_saveexec_b32 s1, vcc_lo
	s_cbranch_execz .LBB29_2
; %bb.4:                                ;   in Loop: Header=BB29_3 Depth=1
	ds_load_b64 v[65:66], v0
	s_wait_dscnt 0x0
	v_add_f64_e64 v[65:66], v[63:64], -v[65:66]
	s_branch .LBB29_2
.LBB29_5:
	s_add_nc_u64 s[0:1], s[6:7], s[2:3]
	s_wait_loadcnt 0x1f
	global_store_b64 v67, v[63:64], s[0:1]
	s_wait_loadcnt 0x1e
	global_store_b64 v67, v[61:62], s[0:1] offset:2048
	s_wait_loadcnt 0x1d
	global_store_b64 v67, v[59:60], s[0:1] offset:4096
	s_wait_loadcnt 0x1c
	global_store_b64 v67, v[57:58], s[0:1] offset:6144
	s_wait_loadcnt 0x1b
	global_store_b64 v67, v[55:56], s[0:1] offset:8192
	s_wait_loadcnt 0x1a
	global_store_b64 v67, v[53:54], s[0:1] offset:10240
	s_wait_loadcnt 0x19
	global_store_b64 v67, v[51:52], s[0:1] offset:12288
	s_wait_loadcnt 0x18
	global_store_b64 v67, v[49:50], s[0:1] offset:14336
	s_wait_loadcnt 0x17
	global_store_b64 v67, v[47:48], s[0:1] offset:16384
	s_wait_loadcnt 0x16
	global_store_b64 v67, v[45:46], s[0:1] offset:18432
	s_wait_loadcnt 0x15
	global_store_b64 v67, v[43:44], s[0:1] offset:20480
	s_wait_loadcnt 0x14
	global_store_b64 v67, v[41:42], s[0:1] offset:22528
	s_wait_loadcnt 0x13
	global_store_b64 v67, v[39:40], s[0:1] offset:24576
	s_wait_loadcnt 0x12
	global_store_b64 v67, v[37:38], s[0:1] offset:26624
	s_wait_loadcnt 0x11
	global_store_b64 v67, v[35:36], s[0:1] offset:28672
	s_wait_loadcnt 0x10
	global_store_b64 v67, v[33:34], s[0:1] offset:30720
	s_wait_loadcnt 0xf
	global_store_b64 v67, v[31:32], s[0:1] offset:32768
	s_wait_loadcnt 0xe
	global_store_b64 v67, v[29:30], s[0:1] offset:34816
	s_wait_loadcnt 0xd
	global_store_b64 v67, v[27:28], s[0:1] offset:36864
	s_wait_loadcnt 0xc
	global_store_b64 v67, v[25:26], s[0:1] offset:38912
	s_wait_loadcnt 0xb
	global_store_b64 v67, v[23:24], s[0:1] offset:40960
	s_wait_loadcnt 0xa
	global_store_b64 v67, v[21:22], s[0:1] offset:43008
	s_wait_loadcnt 0x9
	global_store_b64 v67, v[19:20], s[0:1] offset:45056
	s_wait_loadcnt 0x8
	global_store_b64 v67, v[17:18], s[0:1] offset:47104
	s_wait_loadcnt 0x7
	global_store_b64 v67, v[15:16], s[0:1] offset:49152
	s_wait_loadcnt 0x6
	global_store_b64 v67, v[13:14], s[0:1] offset:51200
	s_wait_loadcnt 0x5
	global_store_b64 v67, v[11:12], s[0:1] offset:53248
	s_wait_loadcnt 0x4
	global_store_b64 v67, v[9:10], s[0:1] offset:55296
	s_wait_loadcnt 0x3
	global_store_b64 v67, v[7:8], s[0:1] offset:57344
	s_wait_loadcnt 0x2
	global_store_b64 v67, v[5:6], s[0:1] offset:59392
	s_wait_loadcnt 0x1
	global_store_b64 v67, v[3:4], s[0:1] offset:61440
	s_wait_loadcnt 0x0
	global_store_b64 v67, v[1:2], s[0:1] offset:63488
	s_endpgm
	.section	.rodata,"a",@progbits
	.p2align	6, 0x0
	.amdhsa_kernel _Z6kernelI13subtract_leftLj256ELj32ELb0EJPdS1_jEEvDpT3_
		.amdhsa_group_segment_fixed_size 4096
		.amdhsa_private_segment_fixed_size 0
		.amdhsa_kernarg_size 20
		.amdhsa_user_sgpr_count 2
		.amdhsa_user_sgpr_dispatch_ptr 0
		.amdhsa_user_sgpr_queue_ptr 0
		.amdhsa_user_sgpr_kernarg_segment_ptr 1
		.amdhsa_user_sgpr_dispatch_id 0
		.amdhsa_user_sgpr_private_segment_size 0
		.amdhsa_wavefront_size32 1
		.amdhsa_uses_dynamic_stack 0
		.amdhsa_enable_private_segment 0
		.amdhsa_system_sgpr_workgroup_id_x 1
		.amdhsa_system_sgpr_workgroup_id_y 0
		.amdhsa_system_sgpr_workgroup_id_z 0
		.amdhsa_system_sgpr_workgroup_info 0
		.amdhsa_system_vgpr_workitem_id 0
		.amdhsa_next_free_vgpr 94
		.amdhsa_next_free_sgpr 8
		.amdhsa_reserve_vcc 1
		.amdhsa_float_round_mode_32 0
		.amdhsa_float_round_mode_16_64 0
		.amdhsa_float_denorm_mode_32 3
		.amdhsa_float_denorm_mode_16_64 3
		.amdhsa_fp16_overflow 0
		.amdhsa_workgroup_processor_mode 1
		.amdhsa_memory_ordered 1
		.amdhsa_forward_progress 1
		.amdhsa_inst_pref_size 12
		.amdhsa_round_robin_scheduling 0
		.amdhsa_exception_fp_ieee_invalid_op 0
		.amdhsa_exception_fp_denorm_src 0
		.amdhsa_exception_fp_ieee_div_zero 0
		.amdhsa_exception_fp_ieee_overflow 0
		.amdhsa_exception_fp_ieee_underflow 0
		.amdhsa_exception_fp_ieee_inexact 0
		.amdhsa_exception_int_div_zero 0
	.end_amdhsa_kernel
	.section	.text._Z6kernelI13subtract_leftLj256ELj32ELb0EJPdS1_jEEvDpT3_,"axG",@progbits,_Z6kernelI13subtract_leftLj256ELj32ELb0EJPdS1_jEEvDpT3_,comdat
.Lfunc_end29:
	.size	_Z6kernelI13subtract_leftLj256ELj32ELb0EJPdS1_jEEvDpT3_, .Lfunc_end29-_Z6kernelI13subtract_leftLj256ELj32ELb0EJPdS1_jEEvDpT3_
                                        ; -- End function
	.set _Z6kernelI13subtract_leftLj256ELj32ELb0EJPdS1_jEEvDpT3_.num_vgpr, 94
	.set _Z6kernelI13subtract_leftLj256ELj32ELb0EJPdS1_jEEvDpT3_.num_agpr, 0
	.set _Z6kernelI13subtract_leftLj256ELj32ELb0EJPdS1_jEEvDpT3_.numbered_sgpr, 8
	.set _Z6kernelI13subtract_leftLj256ELj32ELb0EJPdS1_jEEvDpT3_.num_named_barrier, 0
	.set _Z6kernelI13subtract_leftLj256ELj32ELb0EJPdS1_jEEvDpT3_.private_seg_size, 0
	.set _Z6kernelI13subtract_leftLj256ELj32ELb0EJPdS1_jEEvDpT3_.uses_vcc, 1
	.set _Z6kernelI13subtract_leftLj256ELj32ELb0EJPdS1_jEEvDpT3_.uses_flat_scratch, 0
	.set _Z6kernelI13subtract_leftLj256ELj32ELb0EJPdS1_jEEvDpT3_.has_dyn_sized_stack, 0
	.set _Z6kernelI13subtract_leftLj256ELj32ELb0EJPdS1_jEEvDpT3_.has_recursion, 0
	.set _Z6kernelI13subtract_leftLj256ELj32ELb0EJPdS1_jEEvDpT3_.has_indirect_call, 0
	.section	.AMDGPU.csdata,"",@progbits
; Kernel info:
; codeLenInByte = 1464
; TotalNumSgprs: 10
; NumVgprs: 94
; ScratchSize: 0
; MemoryBound: 0
; FloatMode: 240
; IeeeMode: 1
; LDSByteSize: 4096 bytes/workgroup (compile time only)
; SGPRBlocks: 0
; VGPRBlocks: 11
; NumSGPRsForWavesPerEU: 10
; NumVGPRsForWavesPerEU: 94
; Occupancy: 16
; WaveLimiterHint : 1
; COMPUTE_PGM_RSRC2:SCRATCH_EN: 0
; COMPUTE_PGM_RSRC2:USER_SGPR: 2
; COMPUTE_PGM_RSRC2:TRAP_HANDLER: 0
; COMPUTE_PGM_RSRC2:TGID_X_EN: 1
; COMPUTE_PGM_RSRC2:TGID_Y_EN: 0
; COMPUTE_PGM_RSRC2:TGID_Z_EN: 0
; COMPUTE_PGM_RSRC2:TIDIG_COMP_CNT: 0
	.section	.text._Z6kernelI13subtract_leftLj256ELj1ELb1EJPiS1_jEEvDpT3_,"axG",@progbits,_Z6kernelI13subtract_leftLj256ELj1ELb1EJPiS1_jEEvDpT3_,comdat
	.protected	_Z6kernelI13subtract_leftLj256ELj1ELb1EJPiS1_jEEvDpT3_ ; -- Begin function _Z6kernelI13subtract_leftLj256ELj1ELb1EJPiS1_jEEvDpT3_
	.globl	_Z6kernelI13subtract_leftLj256ELj1ELb1EJPiS1_jEEvDpT3_
	.p2align	8
	.type	_Z6kernelI13subtract_leftLj256ELj1ELb1EJPiS1_jEEvDpT3_,@function
_Z6kernelI13subtract_leftLj256ELj1ELb1EJPiS1_jEEvDpT3_: ; @_Z6kernelI13subtract_leftLj256ELj1ELb1EJPiS1_jEEvDpT3_
; %bb.0:
	s_load_b128 s[4:7], s[0:1], 0x0
	s_lshl_b32 s2, ttmp9, 8
	s_mov_b32 s3, 0
	v_lshlrev_b32_e32 v1, 2, v0
	s_lshl_b64 s[2:3], s[2:3], 2
	s_load_b32 s0, s[0:1], 0x10
	s_wait_kmcnt 0x0
	s_add_nc_u64 s[4:5], s[4:5], s[2:3]
	global_load_b32 v2, v1, s[4:5]
	s_cmp_eq_u32 s0, 0
	s_cbranch_scc1 .LBB30_5
; %bb.1:
	v_cmp_ne_u32_e32 vcc_lo, 0, v0
	v_add_nc_u32_e32 v0, -4, v1
	s_branch .LBB30_3
.LBB30_2:                               ;   in Loop: Header=BB30_3 Depth=1
	s_or_b32 exec_lo, exec_lo, s1
	v_lshlrev_b32_e32 v2, 1, v2
	s_add_co_i32 s0, s0, -1
	s_wait_loadcnt_dscnt 0x0
	s_cmp_lg_u32 s0, 0
	s_barrier_signal -1
	v_sub_nc_u32_e32 v2, v2, v3
	s_barrier_wait -1
	global_inv scope:SCOPE_SE
	s_cbranch_scc0 .LBB30_5
.LBB30_3:                               ; =>This Inner Loop Header: Depth=1
	v_mov_b32_e32 v3, 0x7b
	s_wait_loadcnt 0x0
	ds_store_b32 v1, v2
	s_wait_dscnt 0x0
	s_barrier_signal -1
	s_barrier_wait -1
	global_inv scope:SCOPE_SE
	s_and_saveexec_b32 s1, vcc_lo
	s_cbranch_execz .LBB30_2
; %bb.4:                                ;   in Loop: Header=BB30_3 Depth=1
	ds_load_b32 v3, v0
	s_branch .LBB30_2
.LBB30_5:
	s_add_nc_u64 s[0:1], s[6:7], s[2:3]
	s_wait_loadcnt 0x0
	global_store_b32 v1, v2, s[0:1]
	s_endpgm
	.section	.rodata,"a",@progbits
	.p2align	6, 0x0
	.amdhsa_kernel _Z6kernelI13subtract_leftLj256ELj1ELb1EJPiS1_jEEvDpT3_
		.amdhsa_group_segment_fixed_size 2048
		.amdhsa_private_segment_fixed_size 0
		.amdhsa_kernarg_size 20
		.amdhsa_user_sgpr_count 2
		.amdhsa_user_sgpr_dispatch_ptr 0
		.amdhsa_user_sgpr_queue_ptr 0
		.amdhsa_user_sgpr_kernarg_segment_ptr 1
		.amdhsa_user_sgpr_dispatch_id 0
		.amdhsa_user_sgpr_private_segment_size 0
		.amdhsa_wavefront_size32 1
		.amdhsa_uses_dynamic_stack 0
		.amdhsa_enable_private_segment 0
		.amdhsa_system_sgpr_workgroup_id_x 1
		.amdhsa_system_sgpr_workgroup_id_y 0
		.amdhsa_system_sgpr_workgroup_id_z 0
		.amdhsa_system_sgpr_workgroup_info 0
		.amdhsa_system_vgpr_workitem_id 0
		.amdhsa_next_free_vgpr 4
		.amdhsa_next_free_sgpr 8
		.amdhsa_reserve_vcc 1
		.amdhsa_float_round_mode_32 0
		.amdhsa_float_round_mode_16_64 0
		.amdhsa_float_denorm_mode_32 3
		.amdhsa_float_denorm_mode_16_64 3
		.amdhsa_fp16_overflow 0
		.amdhsa_workgroup_processor_mode 1
		.amdhsa_memory_ordered 1
		.amdhsa_forward_progress 1
		.amdhsa_inst_pref_size 2
		.amdhsa_round_robin_scheduling 0
		.amdhsa_exception_fp_ieee_invalid_op 0
		.amdhsa_exception_fp_denorm_src 0
		.amdhsa_exception_fp_ieee_div_zero 0
		.amdhsa_exception_fp_ieee_overflow 0
		.amdhsa_exception_fp_ieee_underflow 0
		.amdhsa_exception_fp_ieee_inexact 0
		.amdhsa_exception_int_div_zero 0
	.end_amdhsa_kernel
	.section	.text._Z6kernelI13subtract_leftLj256ELj1ELb1EJPiS1_jEEvDpT3_,"axG",@progbits,_Z6kernelI13subtract_leftLj256ELj1ELb1EJPiS1_jEEvDpT3_,comdat
.Lfunc_end30:
	.size	_Z6kernelI13subtract_leftLj256ELj1ELb1EJPiS1_jEEvDpT3_, .Lfunc_end30-_Z6kernelI13subtract_leftLj256ELj1ELb1EJPiS1_jEEvDpT3_
                                        ; -- End function
	.set _Z6kernelI13subtract_leftLj256ELj1ELb1EJPiS1_jEEvDpT3_.num_vgpr, 4
	.set _Z6kernelI13subtract_leftLj256ELj1ELb1EJPiS1_jEEvDpT3_.num_agpr, 0
	.set _Z6kernelI13subtract_leftLj256ELj1ELb1EJPiS1_jEEvDpT3_.numbered_sgpr, 8
	.set _Z6kernelI13subtract_leftLj256ELj1ELb1EJPiS1_jEEvDpT3_.num_named_barrier, 0
	.set _Z6kernelI13subtract_leftLj256ELj1ELb1EJPiS1_jEEvDpT3_.private_seg_size, 0
	.set _Z6kernelI13subtract_leftLj256ELj1ELb1EJPiS1_jEEvDpT3_.uses_vcc, 1
	.set _Z6kernelI13subtract_leftLj256ELj1ELb1EJPiS1_jEEvDpT3_.uses_flat_scratch, 0
	.set _Z6kernelI13subtract_leftLj256ELj1ELb1EJPiS1_jEEvDpT3_.has_dyn_sized_stack, 0
	.set _Z6kernelI13subtract_leftLj256ELj1ELb1EJPiS1_jEEvDpT3_.has_recursion, 0
	.set _Z6kernelI13subtract_leftLj256ELj1ELb1EJPiS1_jEEvDpT3_.has_indirect_call, 0
	.section	.AMDGPU.csdata,"",@progbits
; Kernel info:
; codeLenInByte = 208
; TotalNumSgprs: 10
; NumVgprs: 4
; ScratchSize: 0
; MemoryBound: 0
; FloatMode: 240
; IeeeMode: 1
; LDSByteSize: 2048 bytes/workgroup (compile time only)
; SGPRBlocks: 0
; VGPRBlocks: 0
; NumSGPRsForWavesPerEU: 10
; NumVGPRsForWavesPerEU: 4
; Occupancy: 16
; WaveLimiterHint : 0
; COMPUTE_PGM_RSRC2:SCRATCH_EN: 0
; COMPUTE_PGM_RSRC2:USER_SGPR: 2
; COMPUTE_PGM_RSRC2:TRAP_HANDLER: 0
; COMPUTE_PGM_RSRC2:TGID_X_EN: 1
; COMPUTE_PGM_RSRC2:TGID_Y_EN: 0
; COMPUTE_PGM_RSRC2:TGID_Z_EN: 0
; COMPUTE_PGM_RSRC2:TIDIG_COMP_CNT: 0
	.section	.text._Z6kernelI13subtract_leftLj256ELj3ELb1EJPiS1_jEEvDpT3_,"axG",@progbits,_Z6kernelI13subtract_leftLj256ELj3ELb1EJPiS1_jEEvDpT3_,comdat
	.protected	_Z6kernelI13subtract_leftLj256ELj3ELb1EJPiS1_jEEvDpT3_ ; -- Begin function _Z6kernelI13subtract_leftLj256ELj3ELb1EJPiS1_jEEvDpT3_
	.globl	_Z6kernelI13subtract_leftLj256ELj3ELb1EJPiS1_jEEvDpT3_
	.p2align	8
	.type	_Z6kernelI13subtract_leftLj256ELj3ELb1EJPiS1_jEEvDpT3_,@function
_Z6kernelI13subtract_leftLj256ELj3ELb1EJPiS1_jEEvDpT3_: ; @_Z6kernelI13subtract_leftLj256ELj3ELb1EJPiS1_jEEvDpT3_
; %bb.0:
	s_load_b128 s[4:7], s[0:1], 0x0
	s_mul_i32 s2, ttmp9, 0x300
	s_mov_b32 s3, 0
	v_lshlrev_b32_e32 v1, 2, v0
	s_lshl_b64 s[2:3], s[2:3], 2
	s_load_b32 s0, s[0:1], 0x10
	s_wait_kmcnt 0x0
	s_add_nc_u64 s[4:5], s[4:5], s[2:3]
	s_clause 0x2
	global_load_b32 v3, v1, s[4:5]
	global_load_b32 v4, v1, s[4:5] offset:1024
	global_load_b32 v2, v1, s[4:5] offset:2048
	s_cmp_eq_u32 s0, 0
	s_cbranch_scc1 .LBB31_6
; %bb.1:
	v_cmp_ne_u32_e32 vcc_lo, 0, v0
	v_add_nc_u32_e32 v0, -4, v1
.LBB31_2:                               ; =>This Inner Loop Header: Depth=1
	v_mov_b32_e32 v5, 0x7b
	s_wait_loadcnt 0x0
	ds_store_b32 v1, v2
	s_wait_dscnt 0x0
	s_barrier_signal -1
	s_barrier_wait -1
	global_inv scope:SCOPE_SE
	s_and_saveexec_b32 s1, vcc_lo
; %bb.3:                                ;   in Loop: Header=BB31_2 Depth=1
	ds_load_b32 v5, v0
; %bb.4:                                ;   in Loop: Header=BB31_2 Depth=1
	s_or_b32 exec_lo, exec_lo, s1
	v_lshlrev_b32_e32 v6, 1, v3
	v_lshlrev_b32_e32 v7, 1, v4
	;; [unrolled: 1-line block ×3, first 2 shown]
	s_add_co_i32 s0, s0, -1
	s_wait_loadcnt_dscnt 0x0
	v_sub_nc_u32_e32 v6, v6, v5
	v_sub_nc_u32_e32 v5, v7, v3
	;; [unrolled: 1-line block ×3, first 2 shown]
	s_cmp_lg_u32 s0, 0
	s_barrier_signal -1
	s_barrier_wait -1
	global_inv scope:SCOPE_SE
	s_cbranch_scc0 .LBB31_7
; %bb.5:                                ;   in Loop: Header=BB31_2 Depth=1
	v_dual_mov_b32 v3, v6 :: v_dual_mov_b32 v4, v5
	s_branch .LBB31_2
.LBB31_6:
	s_wait_loadcnt 0x1
	v_dual_mov_b32 v5, v4 :: v_dual_mov_b32 v6, v3
.LBB31_7:
	s_add_nc_u64 s[0:1], s[6:7], s[2:3]
	s_clause 0x1
	global_store_b32 v1, v6, s[0:1]
	global_store_b32 v1, v5, s[0:1] offset:1024
	s_wait_loadcnt 0x0
	global_store_b32 v1, v2, s[0:1] offset:2048
	s_endpgm
	.section	.rodata,"a",@progbits
	.p2align	6, 0x0
	.amdhsa_kernel _Z6kernelI13subtract_leftLj256ELj3ELb1EJPiS1_jEEvDpT3_
		.amdhsa_group_segment_fixed_size 2048
		.amdhsa_private_segment_fixed_size 0
		.amdhsa_kernarg_size 20
		.amdhsa_user_sgpr_count 2
		.amdhsa_user_sgpr_dispatch_ptr 0
		.amdhsa_user_sgpr_queue_ptr 0
		.amdhsa_user_sgpr_kernarg_segment_ptr 1
		.amdhsa_user_sgpr_dispatch_id 0
		.amdhsa_user_sgpr_private_segment_size 0
		.amdhsa_wavefront_size32 1
		.amdhsa_uses_dynamic_stack 0
		.amdhsa_enable_private_segment 0
		.amdhsa_system_sgpr_workgroup_id_x 1
		.amdhsa_system_sgpr_workgroup_id_y 0
		.amdhsa_system_sgpr_workgroup_id_z 0
		.amdhsa_system_sgpr_workgroup_info 0
		.amdhsa_system_vgpr_workitem_id 0
		.amdhsa_next_free_vgpr 8
		.amdhsa_next_free_sgpr 8
		.amdhsa_reserve_vcc 1
		.amdhsa_float_round_mode_32 0
		.amdhsa_float_round_mode_16_64 0
		.amdhsa_float_denorm_mode_32 3
		.amdhsa_float_denorm_mode_16_64 3
		.amdhsa_fp16_overflow 0
		.amdhsa_workgroup_processor_mode 1
		.amdhsa_memory_ordered 1
		.amdhsa_forward_progress 1
		.amdhsa_inst_pref_size 3
		.amdhsa_round_robin_scheduling 0
		.amdhsa_exception_fp_ieee_invalid_op 0
		.amdhsa_exception_fp_denorm_src 0
		.amdhsa_exception_fp_ieee_div_zero 0
		.amdhsa_exception_fp_ieee_overflow 0
		.amdhsa_exception_fp_ieee_underflow 0
		.amdhsa_exception_fp_ieee_inexact 0
		.amdhsa_exception_int_div_zero 0
	.end_amdhsa_kernel
	.section	.text._Z6kernelI13subtract_leftLj256ELj3ELb1EJPiS1_jEEvDpT3_,"axG",@progbits,_Z6kernelI13subtract_leftLj256ELj3ELb1EJPiS1_jEEvDpT3_,comdat
.Lfunc_end31:
	.size	_Z6kernelI13subtract_leftLj256ELj3ELb1EJPiS1_jEEvDpT3_, .Lfunc_end31-_Z6kernelI13subtract_leftLj256ELj3ELb1EJPiS1_jEEvDpT3_
                                        ; -- End function
	.set _Z6kernelI13subtract_leftLj256ELj3ELb1EJPiS1_jEEvDpT3_.num_vgpr, 8
	.set _Z6kernelI13subtract_leftLj256ELj3ELb1EJPiS1_jEEvDpT3_.num_agpr, 0
	.set _Z6kernelI13subtract_leftLj256ELj3ELb1EJPiS1_jEEvDpT3_.numbered_sgpr, 8
	.set _Z6kernelI13subtract_leftLj256ELj3ELb1EJPiS1_jEEvDpT3_.num_named_barrier, 0
	.set _Z6kernelI13subtract_leftLj256ELj3ELb1EJPiS1_jEEvDpT3_.private_seg_size, 0
	.set _Z6kernelI13subtract_leftLj256ELj3ELb1EJPiS1_jEEvDpT3_.uses_vcc, 1
	.set _Z6kernelI13subtract_leftLj256ELj3ELb1EJPiS1_jEEvDpT3_.uses_flat_scratch, 0
	.set _Z6kernelI13subtract_leftLj256ELj3ELb1EJPiS1_jEEvDpT3_.has_dyn_sized_stack, 0
	.set _Z6kernelI13subtract_leftLj256ELj3ELb1EJPiS1_jEEvDpT3_.has_recursion, 0
	.set _Z6kernelI13subtract_leftLj256ELj3ELb1EJPiS1_jEEvDpT3_.has_indirect_call, 0
	.section	.AMDGPU.csdata,"",@progbits
; Kernel info:
; codeLenInByte = 296
; TotalNumSgprs: 10
; NumVgprs: 8
; ScratchSize: 0
; MemoryBound: 0
; FloatMode: 240
; IeeeMode: 1
; LDSByteSize: 2048 bytes/workgroup (compile time only)
; SGPRBlocks: 0
; VGPRBlocks: 0
; NumSGPRsForWavesPerEU: 10
; NumVGPRsForWavesPerEU: 8
; Occupancy: 16
; WaveLimiterHint : 1
; COMPUTE_PGM_RSRC2:SCRATCH_EN: 0
; COMPUTE_PGM_RSRC2:USER_SGPR: 2
; COMPUTE_PGM_RSRC2:TRAP_HANDLER: 0
; COMPUTE_PGM_RSRC2:TGID_X_EN: 1
; COMPUTE_PGM_RSRC2:TGID_Y_EN: 0
; COMPUTE_PGM_RSRC2:TGID_Z_EN: 0
; COMPUTE_PGM_RSRC2:TIDIG_COMP_CNT: 0
	.section	.text._Z6kernelI13subtract_leftLj256ELj4ELb1EJPiS1_jEEvDpT3_,"axG",@progbits,_Z6kernelI13subtract_leftLj256ELj4ELb1EJPiS1_jEEvDpT3_,comdat
	.protected	_Z6kernelI13subtract_leftLj256ELj4ELb1EJPiS1_jEEvDpT3_ ; -- Begin function _Z6kernelI13subtract_leftLj256ELj4ELb1EJPiS1_jEEvDpT3_
	.globl	_Z6kernelI13subtract_leftLj256ELj4ELb1EJPiS1_jEEvDpT3_
	.p2align	8
	.type	_Z6kernelI13subtract_leftLj256ELj4ELb1EJPiS1_jEEvDpT3_,@function
_Z6kernelI13subtract_leftLj256ELj4ELb1EJPiS1_jEEvDpT3_: ; @_Z6kernelI13subtract_leftLj256ELj4ELb1EJPiS1_jEEvDpT3_
; %bb.0:
	s_load_b128 s[4:7], s[0:1], 0x0
	s_lshl_b32 s2, ttmp9, 10
	s_mov_b32 s3, 0
	v_lshlrev_b32_e32 v1, 2, v0
	s_lshl_b64 s[2:3], s[2:3], 2
	s_load_b32 s0, s[0:1], 0x10
	s_wait_kmcnt 0x0
	s_add_nc_u64 s[4:5], s[4:5], s[2:3]
	s_clause 0x3
	global_load_b32 v3, v1, s[4:5]
	global_load_b32 v4, v1, s[4:5] offset:1024
	global_load_b32 v5, v1, s[4:5] offset:2048
	;; [unrolled: 1-line block ×3, first 2 shown]
	s_cmp_eq_u32 s0, 0
	s_cbranch_scc1 .LBB32_6
; %bb.1:
	v_cmp_ne_u32_e32 vcc_lo, 0, v0
	v_add_nc_u32_e32 v0, -4, v1
.LBB32_2:                               ; =>This Inner Loop Header: Depth=1
	v_mov_b32_e32 v6, 0x7b
	s_wait_loadcnt 0x0
	ds_store_b32 v1, v2
	s_wait_dscnt 0x0
	s_barrier_signal -1
	s_barrier_wait -1
	global_inv scope:SCOPE_SE
	s_and_saveexec_b32 s1, vcc_lo
; %bb.3:                                ;   in Loop: Header=BB32_2 Depth=1
	ds_load_b32 v6, v0
; %bb.4:                                ;   in Loop: Header=BB32_2 Depth=1
	s_or_b32 exec_lo, exec_lo, s1
	v_lshlrev_b32_e32 v7, 1, v3
	v_lshlrev_b32_e32 v9, 1, v4
	;; [unrolled: 1-line block ×4, first 2 shown]
	s_add_co_i32 s0, s0, -1
	s_wait_dscnt 0x0
	v_sub_nc_u32_e32 v8, v7, v6
	v_sub_nc_u32_e32 v7, v9, v3
	;; [unrolled: 1-line block ×4, first 2 shown]
	s_cmp_lg_u32 s0, 0
	s_wait_loadcnt 0x0
	s_barrier_signal -1
	s_barrier_wait -1
	global_inv scope:SCOPE_SE
	s_cbranch_scc0 .LBB32_7
; %bb.5:                                ;   in Loop: Header=BB32_2 Depth=1
	v_dual_mov_b32 v3, v8 :: v_dual_mov_b32 v4, v7
	v_mov_b32_e32 v5, v6
	s_branch .LBB32_2
.LBB32_6:
	s_wait_loadcnt 0x1
	v_dual_mov_b32 v6, v5 :: v_dual_mov_b32 v7, v4
	v_mov_b32_e32 v8, v3
.LBB32_7:
	s_add_nc_u64 s[0:1], s[6:7], s[2:3]
	s_clause 0x2
	global_store_b32 v1, v8, s[0:1]
	global_store_b32 v1, v7, s[0:1] offset:1024
	global_store_b32 v1, v6, s[0:1] offset:2048
	s_wait_loadcnt 0x0
	global_store_b32 v1, v2, s[0:1] offset:3072
	s_endpgm
	.section	.rodata,"a",@progbits
	.p2align	6, 0x0
	.amdhsa_kernel _Z6kernelI13subtract_leftLj256ELj4ELb1EJPiS1_jEEvDpT3_
		.amdhsa_group_segment_fixed_size 2048
		.amdhsa_private_segment_fixed_size 0
		.amdhsa_kernarg_size 20
		.amdhsa_user_sgpr_count 2
		.amdhsa_user_sgpr_dispatch_ptr 0
		.amdhsa_user_sgpr_queue_ptr 0
		.amdhsa_user_sgpr_kernarg_segment_ptr 1
		.amdhsa_user_sgpr_dispatch_id 0
		.amdhsa_user_sgpr_private_segment_size 0
		.amdhsa_wavefront_size32 1
		.amdhsa_uses_dynamic_stack 0
		.amdhsa_enable_private_segment 0
		.amdhsa_system_sgpr_workgroup_id_x 1
		.amdhsa_system_sgpr_workgroup_id_y 0
		.amdhsa_system_sgpr_workgroup_id_z 0
		.amdhsa_system_sgpr_workgroup_info 0
		.amdhsa_system_vgpr_workitem_id 0
		.amdhsa_next_free_vgpr 11
		.amdhsa_next_free_sgpr 8
		.amdhsa_reserve_vcc 1
		.amdhsa_float_round_mode_32 0
		.amdhsa_float_round_mode_16_64 0
		.amdhsa_float_denorm_mode_32 3
		.amdhsa_float_denorm_mode_16_64 3
		.amdhsa_fp16_overflow 0
		.amdhsa_workgroup_processor_mode 1
		.amdhsa_memory_ordered 1
		.amdhsa_forward_progress 1
		.amdhsa_inst_pref_size 3
		.amdhsa_round_robin_scheduling 0
		.amdhsa_exception_fp_ieee_invalid_op 0
		.amdhsa_exception_fp_denorm_src 0
		.amdhsa_exception_fp_ieee_div_zero 0
		.amdhsa_exception_fp_ieee_overflow 0
		.amdhsa_exception_fp_ieee_underflow 0
		.amdhsa_exception_fp_ieee_inexact 0
		.amdhsa_exception_int_div_zero 0
	.end_amdhsa_kernel
	.section	.text._Z6kernelI13subtract_leftLj256ELj4ELb1EJPiS1_jEEvDpT3_,"axG",@progbits,_Z6kernelI13subtract_leftLj256ELj4ELb1EJPiS1_jEEvDpT3_,comdat
.Lfunc_end32:
	.size	_Z6kernelI13subtract_leftLj256ELj4ELb1EJPiS1_jEEvDpT3_, .Lfunc_end32-_Z6kernelI13subtract_leftLj256ELj4ELb1EJPiS1_jEEvDpT3_
                                        ; -- End function
	.set _Z6kernelI13subtract_leftLj256ELj4ELb1EJPiS1_jEEvDpT3_.num_vgpr, 11
	.set _Z6kernelI13subtract_leftLj256ELj4ELb1EJPiS1_jEEvDpT3_.num_agpr, 0
	.set _Z6kernelI13subtract_leftLj256ELj4ELb1EJPiS1_jEEvDpT3_.numbered_sgpr, 8
	.set _Z6kernelI13subtract_leftLj256ELj4ELb1EJPiS1_jEEvDpT3_.num_named_barrier, 0
	.set _Z6kernelI13subtract_leftLj256ELj4ELb1EJPiS1_jEEvDpT3_.private_seg_size, 0
	.set _Z6kernelI13subtract_leftLj256ELj4ELb1EJPiS1_jEEvDpT3_.uses_vcc, 1
	.set _Z6kernelI13subtract_leftLj256ELj4ELb1EJPiS1_jEEvDpT3_.uses_flat_scratch, 0
	.set _Z6kernelI13subtract_leftLj256ELj4ELb1EJPiS1_jEEvDpT3_.has_dyn_sized_stack, 0
	.set _Z6kernelI13subtract_leftLj256ELj4ELb1EJPiS1_jEEvDpT3_.has_recursion, 0
	.set _Z6kernelI13subtract_leftLj256ELj4ELb1EJPiS1_jEEvDpT3_.has_indirect_call, 0
	.section	.AMDGPU.csdata,"",@progbits
; Kernel info:
; codeLenInByte = 336
; TotalNumSgprs: 10
; NumVgprs: 11
; ScratchSize: 0
; MemoryBound: 0
; FloatMode: 240
; IeeeMode: 1
; LDSByteSize: 2048 bytes/workgroup (compile time only)
; SGPRBlocks: 0
; VGPRBlocks: 1
; NumSGPRsForWavesPerEU: 10
; NumVGPRsForWavesPerEU: 11
; Occupancy: 16
; WaveLimiterHint : 1
; COMPUTE_PGM_RSRC2:SCRATCH_EN: 0
; COMPUTE_PGM_RSRC2:USER_SGPR: 2
; COMPUTE_PGM_RSRC2:TRAP_HANDLER: 0
; COMPUTE_PGM_RSRC2:TGID_X_EN: 1
; COMPUTE_PGM_RSRC2:TGID_Y_EN: 0
; COMPUTE_PGM_RSRC2:TGID_Z_EN: 0
; COMPUTE_PGM_RSRC2:TIDIG_COMP_CNT: 0
	.section	.text._Z6kernelI13subtract_leftLj256ELj8ELb1EJPiS1_jEEvDpT3_,"axG",@progbits,_Z6kernelI13subtract_leftLj256ELj8ELb1EJPiS1_jEEvDpT3_,comdat
	.protected	_Z6kernelI13subtract_leftLj256ELj8ELb1EJPiS1_jEEvDpT3_ ; -- Begin function _Z6kernelI13subtract_leftLj256ELj8ELb1EJPiS1_jEEvDpT3_
	.globl	_Z6kernelI13subtract_leftLj256ELj8ELb1EJPiS1_jEEvDpT3_
	.p2align	8
	.type	_Z6kernelI13subtract_leftLj256ELj8ELb1EJPiS1_jEEvDpT3_,@function
_Z6kernelI13subtract_leftLj256ELj8ELb1EJPiS1_jEEvDpT3_: ; @_Z6kernelI13subtract_leftLj256ELj8ELb1EJPiS1_jEEvDpT3_
; %bb.0:
	s_load_b128 s[4:7], s[0:1], 0x0
	s_lshl_b32 s2, ttmp9, 11
	s_mov_b32 s3, 0
	v_lshlrev_b32_e32 v1, 2, v0
	s_lshl_b64 s[2:3], s[2:3], 2
	s_load_b32 s0, s[0:1], 0x10
	s_wait_kmcnt 0x0
	s_add_nc_u64 s[4:5], s[4:5], s[2:3]
	s_clause 0x7
	global_load_b32 v6, v1, s[4:5]
	global_load_b32 v8, v1, s[4:5] offset:1024
	global_load_b32 v3, v1, s[4:5] offset:2048
	global_load_b32 v4, v1, s[4:5] offset:3072
	global_load_b32 v5, v1, s[4:5] offset:4096
	global_load_b32 v7, v1, s[4:5] offset:5120
	global_load_b32 v9, v1, s[4:5] offset:6144
	global_load_b32 v2, v1, s[4:5] offset:7168
	s_cmp_eq_u32 s0, 0
	s_cbranch_scc1 .LBB33_6
; %bb.1:
	v_cmp_ne_u32_e32 vcc_lo, 0, v0
	v_add_nc_u32_e32 v0, -4, v1
.LBB33_2:                               ; =>This Inner Loop Header: Depth=1
	v_mov_b32_e32 v10, 0x7b
	s_wait_loadcnt 0x0
	ds_store_b32 v1, v2
	s_wait_dscnt 0x0
	s_barrier_signal -1
	s_barrier_wait -1
	global_inv scope:SCOPE_SE
	s_and_saveexec_b32 s1, vcc_lo
; %bb.3:                                ;   in Loop: Header=BB33_2 Depth=1
	ds_load_b32 v10, v0
; %bb.4:                                ;   in Loop: Header=BB33_2 Depth=1
	s_or_b32 exec_lo, exec_lo, s1
	v_lshlrev_b32_e32 v11, 1, v6
	v_lshlrev_b32_e32 v12, 1, v8
	;; [unrolled: 1-line block ×5, first 2 shown]
	s_wait_dscnt 0x0
	v_sub_nc_u32_e32 v14, v11, v10
	v_sub_nc_u32_e32 v12, v12, v6
	;; [unrolled: 1-line block ×3, first 2 shown]
	v_lshlrev_b32_e32 v6, 1, v4
	v_lshlrev_b32_e32 v8, 1, v5
	v_lshlrev_b32_e32 v11, 1, v7
	v_sub_nc_u32_e32 v2, v2, v9
	s_add_co_i32 s0, s0, -1
	v_sub_nc_u32_e32 v16, v6, v3
	v_sub_nc_u32_e32 v15, v8, v4
	;; [unrolled: 1-line block ×4, first 2 shown]
	s_cmp_lg_u32 s0, 0
	s_wait_loadcnt 0x0
	s_barrier_signal -1
	s_barrier_wait -1
	global_inv scope:SCOPE_SE
	s_cbranch_scc0 .LBB33_7
; %bb.5:                                ;   in Loop: Header=BB33_2 Depth=1
	v_dual_mov_b32 v6, v14 :: v_dual_mov_b32 v3, v10
	v_dual_mov_b32 v8, v12 :: v_dual_mov_b32 v5, v15
	;; [unrolled: 1-line block ×3, first 2 shown]
	v_mov_b32_e32 v9, v11
	s_branch .LBB33_2
.LBB33_6:
	s_wait_loadcnt 0x1
	v_dual_mov_b32 v11, v9 :: v_dual_mov_b32 v16, v4
	v_dual_mov_b32 v13, v7 :: v_dual_mov_b32 v10, v3
	;; [unrolled: 1-line block ×3, first 2 shown]
	v_mov_b32_e32 v14, v6
.LBB33_7:
	s_add_nc_u64 s[0:1], s[6:7], s[2:3]
	s_clause 0x6
	global_store_b32 v1, v14, s[0:1]
	global_store_b32 v1, v12, s[0:1] offset:1024
	global_store_b32 v1, v10, s[0:1] offset:2048
	;; [unrolled: 1-line block ×6, first 2 shown]
	s_wait_loadcnt 0x0
	global_store_b32 v1, v2, s[0:1] offset:7168
	s_endpgm
	.section	.rodata,"a",@progbits
	.p2align	6, 0x0
	.amdhsa_kernel _Z6kernelI13subtract_leftLj256ELj8ELb1EJPiS1_jEEvDpT3_
		.amdhsa_group_segment_fixed_size 2048
		.amdhsa_private_segment_fixed_size 0
		.amdhsa_kernarg_size 20
		.amdhsa_user_sgpr_count 2
		.amdhsa_user_sgpr_dispatch_ptr 0
		.amdhsa_user_sgpr_queue_ptr 0
		.amdhsa_user_sgpr_kernarg_segment_ptr 1
		.amdhsa_user_sgpr_dispatch_id 0
		.amdhsa_user_sgpr_private_segment_size 0
		.amdhsa_wavefront_size32 1
		.amdhsa_uses_dynamic_stack 0
		.amdhsa_enable_private_segment 0
		.amdhsa_system_sgpr_workgroup_id_x 1
		.amdhsa_system_sgpr_workgroup_id_y 0
		.amdhsa_system_sgpr_workgroup_id_z 0
		.amdhsa_system_sgpr_workgroup_info 0
		.amdhsa_system_vgpr_workitem_id 0
		.amdhsa_next_free_vgpr 18
		.amdhsa_next_free_sgpr 8
		.amdhsa_reserve_vcc 1
		.amdhsa_float_round_mode_32 0
		.amdhsa_float_round_mode_16_64 0
		.amdhsa_float_denorm_mode_32 3
		.amdhsa_float_denorm_mode_16_64 3
		.amdhsa_fp16_overflow 0
		.amdhsa_workgroup_processor_mode 1
		.amdhsa_memory_ordered 1
		.amdhsa_forward_progress 1
		.amdhsa_inst_pref_size 4
		.amdhsa_round_robin_scheduling 0
		.amdhsa_exception_fp_ieee_invalid_op 0
		.amdhsa_exception_fp_denorm_src 0
		.amdhsa_exception_fp_ieee_div_zero 0
		.amdhsa_exception_fp_ieee_overflow 0
		.amdhsa_exception_fp_ieee_underflow 0
		.amdhsa_exception_fp_ieee_inexact 0
		.amdhsa_exception_int_div_zero 0
	.end_amdhsa_kernel
	.section	.text._Z6kernelI13subtract_leftLj256ELj8ELb1EJPiS1_jEEvDpT3_,"axG",@progbits,_Z6kernelI13subtract_leftLj256ELj8ELb1EJPiS1_jEEvDpT3_,comdat
.Lfunc_end33:
	.size	_Z6kernelI13subtract_leftLj256ELj8ELb1EJPiS1_jEEvDpT3_, .Lfunc_end33-_Z6kernelI13subtract_leftLj256ELj8ELb1EJPiS1_jEEvDpT3_
                                        ; -- End function
	.set _Z6kernelI13subtract_leftLj256ELj8ELb1EJPiS1_jEEvDpT3_.num_vgpr, 18
	.set _Z6kernelI13subtract_leftLj256ELj8ELb1EJPiS1_jEEvDpT3_.num_agpr, 0
	.set _Z6kernelI13subtract_leftLj256ELj8ELb1EJPiS1_jEEvDpT3_.numbered_sgpr, 8
	.set _Z6kernelI13subtract_leftLj256ELj8ELb1EJPiS1_jEEvDpT3_.num_named_barrier, 0
	.set _Z6kernelI13subtract_leftLj256ELj8ELb1EJPiS1_jEEvDpT3_.private_seg_size, 0
	.set _Z6kernelI13subtract_leftLj256ELj8ELb1EJPiS1_jEEvDpT3_.uses_vcc, 1
	.set _Z6kernelI13subtract_leftLj256ELj8ELb1EJPiS1_jEEvDpT3_.uses_flat_scratch, 0
	.set _Z6kernelI13subtract_leftLj256ELj8ELb1EJPiS1_jEEvDpT3_.has_dyn_sized_stack, 0
	.set _Z6kernelI13subtract_leftLj256ELj8ELb1EJPiS1_jEEvDpT3_.has_recursion, 0
	.set _Z6kernelI13subtract_leftLj256ELj8ELb1EJPiS1_jEEvDpT3_.has_indirect_call, 0
	.section	.AMDGPU.csdata,"",@progbits
; Kernel info:
; codeLenInByte = 496
; TotalNumSgprs: 10
; NumVgprs: 18
; ScratchSize: 0
; MemoryBound: 0
; FloatMode: 240
; IeeeMode: 1
; LDSByteSize: 2048 bytes/workgroup (compile time only)
; SGPRBlocks: 0
; VGPRBlocks: 2
; NumSGPRsForWavesPerEU: 10
; NumVGPRsForWavesPerEU: 18
; Occupancy: 16
; WaveLimiterHint : 1
; COMPUTE_PGM_RSRC2:SCRATCH_EN: 0
; COMPUTE_PGM_RSRC2:USER_SGPR: 2
; COMPUTE_PGM_RSRC2:TRAP_HANDLER: 0
; COMPUTE_PGM_RSRC2:TGID_X_EN: 1
; COMPUTE_PGM_RSRC2:TGID_Y_EN: 0
; COMPUTE_PGM_RSRC2:TGID_Z_EN: 0
; COMPUTE_PGM_RSRC2:TIDIG_COMP_CNT: 0
	.section	.text._Z6kernelI13subtract_leftLj256ELj16ELb1EJPiS1_jEEvDpT3_,"axG",@progbits,_Z6kernelI13subtract_leftLj256ELj16ELb1EJPiS1_jEEvDpT3_,comdat
	.protected	_Z6kernelI13subtract_leftLj256ELj16ELb1EJPiS1_jEEvDpT3_ ; -- Begin function _Z6kernelI13subtract_leftLj256ELj16ELb1EJPiS1_jEEvDpT3_
	.globl	_Z6kernelI13subtract_leftLj256ELj16ELb1EJPiS1_jEEvDpT3_
	.p2align	8
	.type	_Z6kernelI13subtract_leftLj256ELj16ELb1EJPiS1_jEEvDpT3_,@function
_Z6kernelI13subtract_leftLj256ELj16ELb1EJPiS1_jEEvDpT3_: ; @_Z6kernelI13subtract_leftLj256ELj16ELb1EJPiS1_jEEvDpT3_
; %bb.0:
	s_load_b128 s[4:7], s[0:1], 0x0
	s_lshl_b32 s2, ttmp9, 12
	s_mov_b32 s3, 0
	v_lshlrev_b32_e32 v1, 2, v0
	s_lshl_b64 s[2:3], s[2:3], 2
	s_load_b32 s0, s[0:1], 0x10
	s_wait_kmcnt 0x0
	s_add_nc_u64 s[4:5], s[4:5], s[2:3]
	s_clause 0xf
	global_load_b32 v17, v1, s[4:5]
	global_load_b32 v16, v1, s[4:5] offset:1024
	global_load_b32 v15, v1, s[4:5] offset:2048
	;; [unrolled: 1-line block ×15, first 2 shown]
	s_cmp_eq_u32 s0, 0
	s_cbranch_scc1 .LBB34_5
; %bb.1:
	v_cmp_ne_u32_e32 vcc_lo, 0, v0
	v_add_nc_u32_e32 v0, -4, v1
	s_branch .LBB34_3
.LBB34_2:                               ;   in Loop: Header=BB34_3 Depth=1
	s_or_b32 exec_lo, exec_lo, s1
	v_sub_nc_u32_e32 v19, v2, v3
	v_sub_nc_u32_e32 v20, v3, v4
	;; [unrolled: 1-line block ×11, first 2 shown]
	s_wait_dscnt 0x0
	v_sub_nc_u32_e32 v18, v17, v18
	v_sub_nc_u32_e32 v30, v16, v17
	;; [unrolled: 1-line block ×5, first 2 shown]
	v_add_nc_u32_e32 v17, v18, v17
	v_add_nc_u32_e32 v16, v30, v16
	;; [unrolled: 1-line block ×16, first 2 shown]
	s_add_co_i32 s0, s0, -1
	s_wait_loadcnt 0x0
	s_cmp_lg_u32 s0, 0
	s_barrier_signal -1
	s_barrier_wait -1
	global_inv scope:SCOPE_SE
	s_cbranch_scc0 .LBB34_5
.LBB34_3:                               ; =>This Inner Loop Header: Depth=1
	v_mov_b32_e32 v18, 0x7b
	s_wait_loadcnt 0x0
	ds_store_b32 v1, v2
	s_wait_dscnt 0x0
	s_barrier_signal -1
	s_barrier_wait -1
	global_inv scope:SCOPE_SE
	s_and_saveexec_b32 s1, vcc_lo
	s_cbranch_execz .LBB34_2
; %bb.4:                                ;   in Loop: Header=BB34_3 Depth=1
	ds_load_b32 v18, v0
	s_branch .LBB34_2
.LBB34_5:
	s_add_nc_u64 s[0:1], s[6:7], s[2:3]
	s_wait_loadcnt 0xf
	global_store_b32 v1, v17, s[0:1]
	s_wait_loadcnt 0xe
	global_store_b32 v1, v16, s[0:1] offset:1024
	s_wait_loadcnt 0xd
	global_store_b32 v1, v15, s[0:1] offset:2048
	s_wait_loadcnt 0xc
	global_store_b32 v1, v14, s[0:1] offset:3072
	s_wait_loadcnt 0xb
	global_store_b32 v1, v13, s[0:1] offset:4096
	s_wait_loadcnt 0xa
	global_store_b32 v1, v12, s[0:1] offset:5120
	s_wait_loadcnt 0x9
	global_store_b32 v1, v11, s[0:1] offset:6144
	s_wait_loadcnt 0x8
	global_store_b32 v1, v10, s[0:1] offset:7168
	s_wait_loadcnt 0x7
	global_store_b32 v1, v9, s[0:1] offset:8192
	s_wait_loadcnt 0x6
	global_store_b32 v1, v8, s[0:1] offset:9216
	s_wait_loadcnt 0x5
	global_store_b32 v1, v7, s[0:1] offset:10240
	s_wait_loadcnt 0x4
	global_store_b32 v1, v6, s[0:1] offset:11264
	s_wait_loadcnt 0x3
	global_store_b32 v1, v5, s[0:1] offset:12288
	s_wait_loadcnt 0x2
	global_store_b32 v1, v4, s[0:1] offset:13312
	s_wait_loadcnt 0x1
	global_store_b32 v1, v3, s[0:1] offset:14336
	s_wait_loadcnt 0x0
	global_store_b32 v1, v2, s[0:1] offset:15360
	s_endpgm
	.section	.rodata,"a",@progbits
	.p2align	6, 0x0
	.amdhsa_kernel _Z6kernelI13subtract_leftLj256ELj16ELb1EJPiS1_jEEvDpT3_
		.amdhsa_group_segment_fixed_size 2048
		.amdhsa_private_segment_fixed_size 0
		.amdhsa_kernarg_size 20
		.amdhsa_user_sgpr_count 2
		.amdhsa_user_sgpr_dispatch_ptr 0
		.amdhsa_user_sgpr_queue_ptr 0
		.amdhsa_user_sgpr_kernarg_segment_ptr 1
		.amdhsa_user_sgpr_dispatch_id 0
		.amdhsa_user_sgpr_private_segment_size 0
		.amdhsa_wavefront_size32 1
		.amdhsa_uses_dynamic_stack 0
		.amdhsa_enable_private_segment 0
		.amdhsa_system_sgpr_workgroup_id_x 1
		.amdhsa_system_sgpr_workgroup_id_y 0
		.amdhsa_system_sgpr_workgroup_id_z 0
		.amdhsa_system_sgpr_workgroup_info 0
		.amdhsa_system_vgpr_workitem_id 0
		.amdhsa_next_free_vgpr 34
		.amdhsa_next_free_sgpr 8
		.amdhsa_reserve_vcc 1
		.amdhsa_float_round_mode_32 0
		.amdhsa_float_round_mode_16_64 0
		.amdhsa_float_denorm_mode_32 3
		.amdhsa_float_denorm_mode_16_64 3
		.amdhsa_fp16_overflow 0
		.amdhsa_workgroup_processor_mode 1
		.amdhsa_memory_ordered 1
		.amdhsa_forward_progress 1
		.amdhsa_inst_pref_size 6
		.amdhsa_round_robin_scheduling 0
		.amdhsa_exception_fp_ieee_invalid_op 0
		.amdhsa_exception_fp_denorm_src 0
		.amdhsa_exception_fp_ieee_div_zero 0
		.amdhsa_exception_fp_ieee_overflow 0
		.amdhsa_exception_fp_ieee_underflow 0
		.amdhsa_exception_fp_ieee_inexact 0
		.amdhsa_exception_int_div_zero 0
	.end_amdhsa_kernel
	.section	.text._Z6kernelI13subtract_leftLj256ELj16ELb1EJPiS1_jEEvDpT3_,"axG",@progbits,_Z6kernelI13subtract_leftLj256ELj16ELb1EJPiS1_jEEvDpT3_,comdat
.Lfunc_end34:
	.size	_Z6kernelI13subtract_leftLj256ELj16ELb1EJPiS1_jEEvDpT3_, .Lfunc_end34-_Z6kernelI13subtract_leftLj256ELj16ELb1EJPiS1_jEEvDpT3_
                                        ; -- End function
	.set _Z6kernelI13subtract_leftLj256ELj16ELb1EJPiS1_jEEvDpT3_.num_vgpr, 34
	.set _Z6kernelI13subtract_leftLj256ELj16ELb1EJPiS1_jEEvDpT3_.num_agpr, 0
	.set _Z6kernelI13subtract_leftLj256ELj16ELb1EJPiS1_jEEvDpT3_.numbered_sgpr, 8
	.set _Z6kernelI13subtract_leftLj256ELj16ELb1EJPiS1_jEEvDpT3_.num_named_barrier, 0
	.set _Z6kernelI13subtract_leftLj256ELj16ELb1EJPiS1_jEEvDpT3_.private_seg_size, 0
	.set _Z6kernelI13subtract_leftLj256ELj16ELb1EJPiS1_jEEvDpT3_.uses_vcc, 1
	.set _Z6kernelI13subtract_leftLj256ELj16ELb1EJPiS1_jEEvDpT3_.uses_flat_scratch, 0
	.set _Z6kernelI13subtract_leftLj256ELj16ELb1EJPiS1_jEEvDpT3_.has_dyn_sized_stack, 0
	.set _Z6kernelI13subtract_leftLj256ELj16ELb1EJPiS1_jEEvDpT3_.has_recursion, 0
	.set _Z6kernelI13subtract_leftLj256ELj16ELb1EJPiS1_jEEvDpT3_.has_indirect_call, 0
	.section	.AMDGPU.csdata,"",@progbits
; Kernel info:
; codeLenInByte = 756
; TotalNumSgprs: 10
; NumVgprs: 34
; ScratchSize: 0
; MemoryBound: 0
; FloatMode: 240
; IeeeMode: 1
; LDSByteSize: 2048 bytes/workgroup (compile time only)
; SGPRBlocks: 0
; VGPRBlocks: 4
; NumSGPRsForWavesPerEU: 10
; NumVGPRsForWavesPerEU: 34
; Occupancy: 16
; WaveLimiterHint : 1
; COMPUTE_PGM_RSRC2:SCRATCH_EN: 0
; COMPUTE_PGM_RSRC2:USER_SGPR: 2
; COMPUTE_PGM_RSRC2:TRAP_HANDLER: 0
; COMPUTE_PGM_RSRC2:TGID_X_EN: 1
; COMPUTE_PGM_RSRC2:TGID_Y_EN: 0
; COMPUTE_PGM_RSRC2:TGID_Z_EN: 0
; COMPUTE_PGM_RSRC2:TIDIG_COMP_CNT: 0
	.section	.text._Z6kernelI13subtract_leftLj256ELj32ELb1EJPiS1_jEEvDpT3_,"axG",@progbits,_Z6kernelI13subtract_leftLj256ELj32ELb1EJPiS1_jEEvDpT3_,comdat
	.protected	_Z6kernelI13subtract_leftLj256ELj32ELb1EJPiS1_jEEvDpT3_ ; -- Begin function _Z6kernelI13subtract_leftLj256ELj32ELb1EJPiS1_jEEvDpT3_
	.globl	_Z6kernelI13subtract_leftLj256ELj32ELb1EJPiS1_jEEvDpT3_
	.p2align	8
	.type	_Z6kernelI13subtract_leftLj256ELj32ELb1EJPiS1_jEEvDpT3_,@function
_Z6kernelI13subtract_leftLj256ELj32ELb1EJPiS1_jEEvDpT3_: ; @_Z6kernelI13subtract_leftLj256ELj32ELb1EJPiS1_jEEvDpT3_
; %bb.0:
	s_load_b128 s[4:7], s[0:1], 0x0
	s_lshl_b32 s2, ttmp9, 13
	s_mov_b32 s3, 0
	v_lshlrev_b32_e32 v1, 2, v0
	s_lshl_b64 s[2:3], s[2:3], 2
	s_load_b32 s0, s[0:1], 0x10
	s_wait_kmcnt 0x0
	s_add_nc_u64 s[4:5], s[4:5], s[2:3]
	s_clause 0x1f
	global_load_b32 v33, v1, s[4:5]
	global_load_b32 v32, v1, s[4:5] offset:1024
	global_load_b32 v31, v1, s[4:5] offset:2048
	;; [unrolled: 1-line block ×31, first 2 shown]
	s_cmp_eq_u32 s0, 0
	s_cbranch_scc1 .LBB35_5
; %bb.1:
	v_cmp_ne_u32_e32 vcc_lo, 0, v0
	v_add_nc_u32_e32 v0, -4, v1
	s_branch .LBB35_3
.LBB35_2:                               ;   in Loop: Header=BB35_3 Depth=1
	s_or_b32 exec_lo, exec_lo, s1
	v_sub_nc_u32_e32 v35, v2, v3
	v_sub_nc_u32_e32 v36, v3, v4
	v_sub_nc_u32_e32 v37, v4, v5
	v_sub_nc_u32_e32 v38, v5, v6
	v_sub_nc_u32_e32 v39, v6, v7
	v_sub_nc_u32_e32 v40, v7, v8
	v_sub_nc_u32_e32 v41, v8, v9
	v_sub_nc_u32_e32 v42, v9, v10
	v_sub_nc_u32_e32 v43, v10, v11
	v_sub_nc_u32_e32 v44, v11, v12
	v_sub_nc_u32_e32 v45, v12, v13
	v_sub_nc_u32_e32 v46, v13, v14
	v_sub_nc_u32_e32 v47, v14, v15
	v_sub_nc_u32_e32 v48, v15, v16
	v_sub_nc_u32_e32 v49, v16, v17
	v_sub_nc_u32_e32 v50, v17, v18
	v_sub_nc_u32_e32 v51, v18, v19
	v_sub_nc_u32_e32 v52, v19, v20
	v_sub_nc_u32_e32 v53, v20, v21
	v_sub_nc_u32_e32 v54, v21, v22
	v_sub_nc_u32_e32 v55, v22, v23
	v_sub_nc_u32_e32 v56, v23, v24
	v_sub_nc_u32_e32 v57, v24, v25
	v_sub_nc_u32_e32 v58, v25, v26
	v_sub_nc_u32_e32 v59, v26, v27
	v_sub_nc_u32_e32 v60, v27, v28
	v_sub_nc_u32_e32 v61, v28, v29
	s_wait_dscnt 0x0
	v_sub_nc_u32_e32 v34, v33, v34
	v_sub_nc_u32_e32 v62, v32, v33
	;; [unrolled: 1-line block ×5, first 2 shown]
	v_add_nc_u32_e32 v33, v34, v33
	v_add_nc_u32_e32 v32, v62, v32
	;; [unrolled: 1-line block ×32, first 2 shown]
	s_add_co_i32 s0, s0, -1
	s_wait_loadcnt 0x0
	s_cmp_lg_u32 s0, 0
	s_barrier_signal -1
	s_barrier_wait -1
	global_inv scope:SCOPE_SE
	s_cbranch_scc0 .LBB35_5
.LBB35_3:                               ; =>This Inner Loop Header: Depth=1
	v_mov_b32_e32 v34, 0x7b
	s_wait_loadcnt 0x0
	ds_store_b32 v1, v2
	s_wait_dscnt 0x0
	s_barrier_signal -1
	s_barrier_wait -1
	global_inv scope:SCOPE_SE
	s_and_saveexec_b32 s1, vcc_lo
	s_cbranch_execz .LBB35_2
; %bb.4:                                ;   in Loop: Header=BB35_3 Depth=1
	ds_load_b32 v34, v0
	s_branch .LBB35_2
.LBB35_5:
	s_add_nc_u64 s[0:1], s[6:7], s[2:3]
	s_wait_loadcnt 0x1f
	global_store_b32 v1, v33, s[0:1]
	s_wait_loadcnt 0x1e
	global_store_b32 v1, v32, s[0:1] offset:1024
	s_wait_loadcnt 0x1d
	global_store_b32 v1, v31, s[0:1] offset:2048
	;; [unrolled: 2-line block ×31, first 2 shown]
	s_endpgm
	.section	.rodata,"a",@progbits
	.p2align	6, 0x0
	.amdhsa_kernel _Z6kernelI13subtract_leftLj256ELj32ELb1EJPiS1_jEEvDpT3_
		.amdhsa_group_segment_fixed_size 2048
		.amdhsa_private_segment_fixed_size 0
		.amdhsa_kernarg_size 20
		.amdhsa_user_sgpr_count 2
		.amdhsa_user_sgpr_dispatch_ptr 0
		.amdhsa_user_sgpr_queue_ptr 0
		.amdhsa_user_sgpr_kernarg_segment_ptr 1
		.amdhsa_user_sgpr_dispatch_id 0
		.amdhsa_user_sgpr_private_segment_size 0
		.amdhsa_wavefront_size32 1
		.amdhsa_uses_dynamic_stack 0
		.amdhsa_enable_private_segment 0
		.amdhsa_system_sgpr_workgroup_id_x 1
		.amdhsa_system_sgpr_workgroup_id_y 0
		.amdhsa_system_sgpr_workgroup_id_z 0
		.amdhsa_system_sgpr_workgroup_info 0
		.amdhsa_system_vgpr_workitem_id 0
		.amdhsa_next_free_vgpr 66
		.amdhsa_next_free_sgpr 8
		.amdhsa_reserve_vcc 1
		.amdhsa_float_round_mode_32 0
		.amdhsa_float_round_mode_16_64 0
		.amdhsa_float_denorm_mode_32 3
		.amdhsa_float_denorm_mode_16_64 3
		.amdhsa_fp16_overflow 0
		.amdhsa_workgroup_processor_mode 1
		.amdhsa_memory_ordered 1
		.amdhsa_forward_progress 1
		.amdhsa_inst_pref_size 11
		.amdhsa_round_robin_scheduling 0
		.amdhsa_exception_fp_ieee_invalid_op 0
		.amdhsa_exception_fp_denorm_src 0
		.amdhsa_exception_fp_ieee_div_zero 0
		.amdhsa_exception_fp_ieee_overflow 0
		.amdhsa_exception_fp_ieee_underflow 0
		.amdhsa_exception_fp_ieee_inexact 0
		.amdhsa_exception_int_div_zero 0
	.end_amdhsa_kernel
	.section	.text._Z6kernelI13subtract_leftLj256ELj32ELb1EJPiS1_jEEvDpT3_,"axG",@progbits,_Z6kernelI13subtract_leftLj256ELj32ELb1EJPiS1_jEEvDpT3_,comdat
.Lfunc_end35:
	.size	_Z6kernelI13subtract_leftLj256ELj32ELb1EJPiS1_jEEvDpT3_, .Lfunc_end35-_Z6kernelI13subtract_leftLj256ELj32ELb1EJPiS1_jEEvDpT3_
                                        ; -- End function
	.set _Z6kernelI13subtract_leftLj256ELj32ELb1EJPiS1_jEEvDpT3_.num_vgpr, 66
	.set _Z6kernelI13subtract_leftLj256ELj32ELb1EJPiS1_jEEvDpT3_.num_agpr, 0
	.set _Z6kernelI13subtract_leftLj256ELj32ELb1EJPiS1_jEEvDpT3_.numbered_sgpr, 8
	.set _Z6kernelI13subtract_leftLj256ELj32ELb1EJPiS1_jEEvDpT3_.num_named_barrier, 0
	.set _Z6kernelI13subtract_leftLj256ELj32ELb1EJPiS1_jEEvDpT3_.private_seg_size, 0
	.set _Z6kernelI13subtract_leftLj256ELj32ELb1EJPiS1_jEEvDpT3_.uses_vcc, 1
	.set _Z6kernelI13subtract_leftLj256ELj32ELb1EJPiS1_jEEvDpT3_.uses_flat_scratch, 0
	.set _Z6kernelI13subtract_leftLj256ELj32ELb1EJPiS1_jEEvDpT3_.has_dyn_sized_stack, 0
	.set _Z6kernelI13subtract_leftLj256ELj32ELb1EJPiS1_jEEvDpT3_.has_recursion, 0
	.set _Z6kernelI13subtract_leftLj256ELj32ELb1EJPiS1_jEEvDpT3_.has_indirect_call, 0
	.section	.AMDGPU.csdata,"",@progbits
; Kernel info:
; codeLenInByte = 1332
; TotalNumSgprs: 10
; NumVgprs: 66
; ScratchSize: 0
; MemoryBound: 0
; FloatMode: 240
; IeeeMode: 1
; LDSByteSize: 2048 bytes/workgroup (compile time only)
; SGPRBlocks: 0
; VGPRBlocks: 8
; NumSGPRsForWavesPerEU: 10
; NumVGPRsForWavesPerEU: 66
; Occupancy: 16
; WaveLimiterHint : 1
; COMPUTE_PGM_RSRC2:SCRATCH_EN: 0
; COMPUTE_PGM_RSRC2:USER_SGPR: 2
; COMPUTE_PGM_RSRC2:TRAP_HANDLER: 0
; COMPUTE_PGM_RSRC2:TGID_X_EN: 1
; COMPUTE_PGM_RSRC2:TGID_Y_EN: 0
; COMPUTE_PGM_RSRC2:TGID_Z_EN: 0
; COMPUTE_PGM_RSRC2:TIDIG_COMP_CNT: 0
	.section	.text._Z6kernelI13subtract_leftLj256ELj1ELb1EJPfS1_jEEvDpT3_,"axG",@progbits,_Z6kernelI13subtract_leftLj256ELj1ELb1EJPfS1_jEEvDpT3_,comdat
	.protected	_Z6kernelI13subtract_leftLj256ELj1ELb1EJPfS1_jEEvDpT3_ ; -- Begin function _Z6kernelI13subtract_leftLj256ELj1ELb1EJPfS1_jEEvDpT3_
	.globl	_Z6kernelI13subtract_leftLj256ELj1ELb1EJPfS1_jEEvDpT3_
	.p2align	8
	.type	_Z6kernelI13subtract_leftLj256ELj1ELb1EJPfS1_jEEvDpT3_,@function
_Z6kernelI13subtract_leftLj256ELj1ELb1EJPfS1_jEEvDpT3_: ; @_Z6kernelI13subtract_leftLj256ELj1ELb1EJPfS1_jEEvDpT3_
; %bb.0:
	s_load_b128 s[4:7], s[0:1], 0x0
	s_lshl_b32 s2, ttmp9, 8
	s_mov_b32 s3, 0
	v_lshlrev_b32_e32 v1, 2, v0
	s_lshl_b64 s[2:3], s[2:3], 2
	s_load_b32 s0, s[0:1], 0x10
	s_wait_kmcnt 0x0
	s_add_nc_u64 s[4:5], s[4:5], s[2:3]
	global_load_b32 v2, v1, s[4:5]
	s_cmp_eq_u32 s0, 0
	s_cbranch_scc1 .LBB36_5
; %bb.1:
	v_cmp_ne_u32_e32 vcc_lo, 0, v0
	v_add_nc_u32_e32 v0, -4, v1
	s_branch .LBB36_3
.LBB36_2:                               ;   in Loop: Header=BB36_3 Depth=1
	s_or_b32 exec_lo, exec_lo, s1
	s_wait_dscnt 0x0
	v_sub_f32_e32 v3, v2, v3
	s_add_co_i32 s0, s0, -1
	s_wait_loadcnt 0x0
	s_cmp_lg_u32 s0, 0
	s_barrier_signal -1
	v_add_f32_e32 v2, v2, v3
	s_barrier_wait -1
	global_inv scope:SCOPE_SE
	s_cbranch_scc0 .LBB36_5
.LBB36_3:                               ; =>This Inner Loop Header: Depth=1
	v_mov_b32_e32 v3, 0x42f60000
	s_wait_loadcnt 0x0
	ds_store_b32 v1, v2
	s_wait_dscnt 0x0
	s_barrier_signal -1
	s_barrier_wait -1
	global_inv scope:SCOPE_SE
	s_and_saveexec_b32 s1, vcc_lo
	s_cbranch_execz .LBB36_2
; %bb.4:                                ;   in Loop: Header=BB36_3 Depth=1
	ds_load_b32 v3, v0
	s_branch .LBB36_2
.LBB36_5:
	s_add_nc_u64 s[0:1], s[6:7], s[2:3]
	s_wait_loadcnt 0x0
	global_store_b32 v1, v2, s[0:1]
	s_endpgm
	.section	.rodata,"a",@progbits
	.p2align	6, 0x0
	.amdhsa_kernel _Z6kernelI13subtract_leftLj256ELj1ELb1EJPfS1_jEEvDpT3_
		.amdhsa_group_segment_fixed_size 2048
		.amdhsa_private_segment_fixed_size 0
		.amdhsa_kernarg_size 20
		.amdhsa_user_sgpr_count 2
		.amdhsa_user_sgpr_dispatch_ptr 0
		.amdhsa_user_sgpr_queue_ptr 0
		.amdhsa_user_sgpr_kernarg_segment_ptr 1
		.amdhsa_user_sgpr_dispatch_id 0
		.amdhsa_user_sgpr_private_segment_size 0
		.amdhsa_wavefront_size32 1
		.amdhsa_uses_dynamic_stack 0
		.amdhsa_enable_private_segment 0
		.amdhsa_system_sgpr_workgroup_id_x 1
		.amdhsa_system_sgpr_workgroup_id_y 0
		.amdhsa_system_sgpr_workgroup_id_z 0
		.amdhsa_system_sgpr_workgroup_info 0
		.amdhsa_system_vgpr_workitem_id 0
		.amdhsa_next_free_vgpr 4
		.amdhsa_next_free_sgpr 8
		.amdhsa_reserve_vcc 1
		.amdhsa_float_round_mode_32 0
		.amdhsa_float_round_mode_16_64 0
		.amdhsa_float_denorm_mode_32 3
		.amdhsa_float_denorm_mode_16_64 3
		.amdhsa_fp16_overflow 0
		.amdhsa_workgroup_processor_mode 1
		.amdhsa_memory_ordered 1
		.amdhsa_forward_progress 1
		.amdhsa_inst_pref_size 2
		.amdhsa_round_robin_scheduling 0
		.amdhsa_exception_fp_ieee_invalid_op 0
		.amdhsa_exception_fp_denorm_src 0
		.amdhsa_exception_fp_ieee_div_zero 0
		.amdhsa_exception_fp_ieee_overflow 0
		.amdhsa_exception_fp_ieee_underflow 0
		.amdhsa_exception_fp_ieee_inexact 0
		.amdhsa_exception_int_div_zero 0
	.end_amdhsa_kernel
	.section	.text._Z6kernelI13subtract_leftLj256ELj1ELb1EJPfS1_jEEvDpT3_,"axG",@progbits,_Z6kernelI13subtract_leftLj256ELj1ELb1EJPfS1_jEEvDpT3_,comdat
.Lfunc_end36:
	.size	_Z6kernelI13subtract_leftLj256ELj1ELb1EJPfS1_jEEvDpT3_, .Lfunc_end36-_Z6kernelI13subtract_leftLj256ELj1ELb1EJPfS1_jEEvDpT3_
                                        ; -- End function
	.set _Z6kernelI13subtract_leftLj256ELj1ELb1EJPfS1_jEEvDpT3_.num_vgpr, 4
	.set _Z6kernelI13subtract_leftLj256ELj1ELb1EJPfS1_jEEvDpT3_.num_agpr, 0
	.set _Z6kernelI13subtract_leftLj256ELj1ELb1EJPfS1_jEEvDpT3_.numbered_sgpr, 8
	.set _Z6kernelI13subtract_leftLj256ELj1ELb1EJPfS1_jEEvDpT3_.num_named_barrier, 0
	.set _Z6kernelI13subtract_leftLj256ELj1ELb1EJPfS1_jEEvDpT3_.private_seg_size, 0
	.set _Z6kernelI13subtract_leftLj256ELj1ELb1EJPfS1_jEEvDpT3_.uses_vcc, 1
	.set _Z6kernelI13subtract_leftLj256ELj1ELb1EJPfS1_jEEvDpT3_.uses_flat_scratch, 0
	.set _Z6kernelI13subtract_leftLj256ELj1ELb1EJPfS1_jEEvDpT3_.has_dyn_sized_stack, 0
	.set _Z6kernelI13subtract_leftLj256ELj1ELb1EJPfS1_jEEvDpT3_.has_recursion, 0
	.set _Z6kernelI13subtract_leftLj256ELj1ELb1EJPfS1_jEEvDpT3_.has_indirect_call, 0
	.section	.AMDGPU.csdata,"",@progbits
; Kernel info:
; codeLenInByte = 212
; TotalNumSgprs: 10
; NumVgprs: 4
; ScratchSize: 0
; MemoryBound: 0
; FloatMode: 240
; IeeeMode: 1
; LDSByteSize: 2048 bytes/workgroup (compile time only)
; SGPRBlocks: 0
; VGPRBlocks: 0
; NumSGPRsForWavesPerEU: 10
; NumVGPRsForWavesPerEU: 4
; Occupancy: 16
; WaveLimiterHint : 0
; COMPUTE_PGM_RSRC2:SCRATCH_EN: 0
; COMPUTE_PGM_RSRC2:USER_SGPR: 2
; COMPUTE_PGM_RSRC2:TRAP_HANDLER: 0
; COMPUTE_PGM_RSRC2:TGID_X_EN: 1
; COMPUTE_PGM_RSRC2:TGID_Y_EN: 0
; COMPUTE_PGM_RSRC2:TGID_Z_EN: 0
; COMPUTE_PGM_RSRC2:TIDIG_COMP_CNT: 0
	.section	.text._Z6kernelI13subtract_leftLj256ELj3ELb1EJPfS1_jEEvDpT3_,"axG",@progbits,_Z6kernelI13subtract_leftLj256ELj3ELb1EJPfS1_jEEvDpT3_,comdat
	.protected	_Z6kernelI13subtract_leftLj256ELj3ELb1EJPfS1_jEEvDpT3_ ; -- Begin function _Z6kernelI13subtract_leftLj256ELj3ELb1EJPfS1_jEEvDpT3_
	.globl	_Z6kernelI13subtract_leftLj256ELj3ELb1EJPfS1_jEEvDpT3_
	.p2align	8
	.type	_Z6kernelI13subtract_leftLj256ELj3ELb1EJPfS1_jEEvDpT3_,@function
_Z6kernelI13subtract_leftLj256ELj3ELb1EJPfS1_jEEvDpT3_: ; @_Z6kernelI13subtract_leftLj256ELj3ELb1EJPfS1_jEEvDpT3_
; %bb.0:
	s_load_b128 s[4:7], s[0:1], 0x0
	s_mul_i32 s2, ttmp9, 0x300
	s_mov_b32 s3, 0
	v_lshlrev_b32_e32 v1, 2, v0
	s_lshl_b64 s[2:3], s[2:3], 2
	s_load_b32 s0, s[0:1], 0x10
	s_wait_kmcnt 0x0
	s_add_nc_u64 s[4:5], s[4:5], s[2:3]
	s_clause 0x2
	global_load_b32 v4, v1, s[4:5]
	global_load_b32 v3, v1, s[4:5] offset:1024
	global_load_b32 v2, v1, s[4:5] offset:2048
	s_cmp_eq_u32 s0, 0
	s_cbranch_scc1 .LBB37_5
; %bb.1:
	v_cmp_ne_u32_e32 vcc_lo, 0, v0
	v_add_nc_u32_e32 v0, -4, v1
	s_branch .LBB37_3
.LBB37_2:                               ;   in Loop: Header=BB37_3 Depth=1
	s_or_b32 exec_lo, exec_lo, s1
	s_wait_dscnt 0x0
	v_dual_sub_f32 v5, v4, v5 :: v_dual_sub_f32 v6, v3, v4
	v_sub_f32_e32 v7, v2, v3
	s_add_co_i32 s0, s0, -1
	s_wait_loadcnt 0x0
	s_delay_alu instid0(VALU_DEP_2) | instskip(NEXT) | instid1(VALU_DEP_2)
	v_dual_add_f32 v4, v4, v5 :: v_dual_add_f32 v3, v3, v6
	v_add_f32_e32 v2, v2, v7
	s_cmp_lg_u32 s0, 0
	s_barrier_signal -1
	s_barrier_wait -1
	global_inv scope:SCOPE_SE
	s_cbranch_scc0 .LBB37_5
.LBB37_3:                               ; =>This Inner Loop Header: Depth=1
	v_mov_b32_e32 v5, 0x42f60000
	s_wait_loadcnt 0x0
	ds_store_b32 v1, v2
	s_wait_dscnt 0x0
	s_barrier_signal -1
	s_barrier_wait -1
	global_inv scope:SCOPE_SE
	s_and_saveexec_b32 s1, vcc_lo
	s_cbranch_execz .LBB37_2
; %bb.4:                                ;   in Loop: Header=BB37_3 Depth=1
	ds_load_b32 v5, v0
	s_branch .LBB37_2
.LBB37_5:
	s_add_nc_u64 s[0:1], s[6:7], s[2:3]
	s_wait_loadcnt 0x2
	global_store_b32 v1, v4, s[0:1]
	s_wait_loadcnt 0x1
	global_store_b32 v1, v3, s[0:1] offset:1024
	s_wait_loadcnt 0x0
	global_store_b32 v1, v2, s[0:1] offset:2048
	s_endpgm
	.section	.rodata,"a",@progbits
	.p2align	6, 0x0
	.amdhsa_kernel _Z6kernelI13subtract_leftLj256ELj3ELb1EJPfS1_jEEvDpT3_
		.amdhsa_group_segment_fixed_size 2048
		.amdhsa_private_segment_fixed_size 0
		.amdhsa_kernarg_size 20
		.amdhsa_user_sgpr_count 2
		.amdhsa_user_sgpr_dispatch_ptr 0
		.amdhsa_user_sgpr_queue_ptr 0
		.amdhsa_user_sgpr_kernarg_segment_ptr 1
		.amdhsa_user_sgpr_dispatch_id 0
		.amdhsa_user_sgpr_private_segment_size 0
		.amdhsa_wavefront_size32 1
		.amdhsa_uses_dynamic_stack 0
		.amdhsa_enable_private_segment 0
		.amdhsa_system_sgpr_workgroup_id_x 1
		.amdhsa_system_sgpr_workgroup_id_y 0
		.amdhsa_system_sgpr_workgroup_id_z 0
		.amdhsa_system_sgpr_workgroup_info 0
		.amdhsa_system_vgpr_workitem_id 0
		.amdhsa_next_free_vgpr 8
		.amdhsa_next_free_sgpr 8
		.amdhsa_reserve_vcc 1
		.amdhsa_float_round_mode_32 0
		.amdhsa_float_round_mode_16_64 0
		.amdhsa_float_denorm_mode_32 3
		.amdhsa_float_denorm_mode_16_64 3
		.amdhsa_fp16_overflow 0
		.amdhsa_workgroup_processor_mode 1
		.amdhsa_memory_ordered 1
		.amdhsa_forward_progress 1
		.amdhsa_inst_pref_size 3
		.amdhsa_round_robin_scheduling 0
		.amdhsa_exception_fp_ieee_invalid_op 0
		.amdhsa_exception_fp_denorm_src 0
		.amdhsa_exception_fp_ieee_div_zero 0
		.amdhsa_exception_fp_ieee_overflow 0
		.amdhsa_exception_fp_ieee_underflow 0
		.amdhsa_exception_fp_ieee_inexact 0
		.amdhsa_exception_int_div_zero 0
	.end_amdhsa_kernel
	.section	.text._Z6kernelI13subtract_leftLj256ELj3ELb1EJPfS1_jEEvDpT3_,"axG",@progbits,_Z6kernelI13subtract_leftLj256ELj3ELb1EJPfS1_jEEvDpT3_,comdat
.Lfunc_end37:
	.size	_Z6kernelI13subtract_leftLj256ELj3ELb1EJPfS1_jEEvDpT3_, .Lfunc_end37-_Z6kernelI13subtract_leftLj256ELj3ELb1EJPfS1_jEEvDpT3_
                                        ; -- End function
	.set _Z6kernelI13subtract_leftLj256ELj3ELb1EJPfS1_jEEvDpT3_.num_vgpr, 8
	.set _Z6kernelI13subtract_leftLj256ELj3ELb1EJPfS1_jEEvDpT3_.num_agpr, 0
	.set _Z6kernelI13subtract_leftLj256ELj3ELb1EJPfS1_jEEvDpT3_.numbered_sgpr, 8
	.set _Z6kernelI13subtract_leftLj256ELj3ELb1EJPfS1_jEEvDpT3_.num_named_barrier, 0
	.set _Z6kernelI13subtract_leftLj256ELj3ELb1EJPfS1_jEEvDpT3_.private_seg_size, 0
	.set _Z6kernelI13subtract_leftLj256ELj3ELb1EJPfS1_jEEvDpT3_.uses_vcc, 1
	.set _Z6kernelI13subtract_leftLj256ELj3ELb1EJPfS1_jEEvDpT3_.uses_flat_scratch, 0
	.set _Z6kernelI13subtract_leftLj256ELj3ELb1EJPfS1_jEEvDpT3_.has_dyn_sized_stack, 0
	.set _Z6kernelI13subtract_leftLj256ELj3ELb1EJPfS1_jEEvDpT3_.has_recursion, 0
	.set _Z6kernelI13subtract_leftLj256ELj3ELb1EJPfS1_jEEvDpT3_.has_indirect_call, 0
	.section	.AMDGPU.csdata,"",@progbits
; Kernel info:
; codeLenInByte = 296
; TotalNumSgprs: 10
; NumVgprs: 8
; ScratchSize: 0
; MemoryBound: 0
; FloatMode: 240
; IeeeMode: 1
; LDSByteSize: 2048 bytes/workgroup (compile time only)
; SGPRBlocks: 0
; VGPRBlocks: 0
; NumSGPRsForWavesPerEU: 10
; NumVGPRsForWavesPerEU: 8
; Occupancy: 16
; WaveLimiterHint : 1
; COMPUTE_PGM_RSRC2:SCRATCH_EN: 0
; COMPUTE_PGM_RSRC2:USER_SGPR: 2
; COMPUTE_PGM_RSRC2:TRAP_HANDLER: 0
; COMPUTE_PGM_RSRC2:TGID_X_EN: 1
; COMPUTE_PGM_RSRC2:TGID_Y_EN: 0
; COMPUTE_PGM_RSRC2:TGID_Z_EN: 0
; COMPUTE_PGM_RSRC2:TIDIG_COMP_CNT: 0
	.section	.text._Z6kernelI13subtract_leftLj256ELj4ELb1EJPfS1_jEEvDpT3_,"axG",@progbits,_Z6kernelI13subtract_leftLj256ELj4ELb1EJPfS1_jEEvDpT3_,comdat
	.protected	_Z6kernelI13subtract_leftLj256ELj4ELb1EJPfS1_jEEvDpT3_ ; -- Begin function _Z6kernelI13subtract_leftLj256ELj4ELb1EJPfS1_jEEvDpT3_
	.globl	_Z6kernelI13subtract_leftLj256ELj4ELb1EJPfS1_jEEvDpT3_
	.p2align	8
	.type	_Z6kernelI13subtract_leftLj256ELj4ELb1EJPfS1_jEEvDpT3_,@function
_Z6kernelI13subtract_leftLj256ELj4ELb1EJPfS1_jEEvDpT3_: ; @_Z6kernelI13subtract_leftLj256ELj4ELb1EJPfS1_jEEvDpT3_
; %bb.0:
	s_load_b128 s[4:7], s[0:1], 0x0
	s_lshl_b32 s2, ttmp9, 10
	s_mov_b32 s3, 0
	v_lshlrev_b32_e32 v1, 2, v0
	s_lshl_b64 s[2:3], s[2:3], 2
	s_load_b32 s0, s[0:1], 0x10
	s_wait_kmcnt 0x0
	s_add_nc_u64 s[4:5], s[4:5], s[2:3]
	s_clause 0x3
	global_load_b32 v5, v1, s[4:5]
	global_load_b32 v4, v1, s[4:5] offset:1024
	global_load_b32 v3, v1, s[4:5] offset:2048
	;; [unrolled: 1-line block ×3, first 2 shown]
	s_cmp_eq_u32 s0, 0
	s_cbranch_scc1 .LBB38_5
; %bb.1:
	v_cmp_ne_u32_e32 vcc_lo, 0, v0
	v_add_nc_u32_e32 v0, -4, v1
	s_branch .LBB38_3
.LBB38_2:                               ;   in Loop: Header=BB38_3 Depth=1
	s_or_b32 exec_lo, exec_lo, s1
	s_wait_dscnt 0x0
	v_dual_sub_f32 v6, v5, v6 :: v_dual_sub_f32 v7, v4, v5
	v_dual_sub_f32 v8, v3, v4 :: v_dual_sub_f32 v9, v2, v3
	s_add_co_i32 s0, s0, -1
	s_delay_alu instid0(VALU_DEP_2) | instskip(NEXT) | instid1(VALU_DEP_2)
	v_dual_add_f32 v5, v5, v6 :: v_dual_add_f32 v4, v4, v7
	v_dual_add_f32 v3, v3, v8 :: v_dual_add_f32 v2, v2, v9
	s_cmp_lg_u32 s0, 0
	s_wait_loadcnt 0x0
	s_barrier_signal -1
	s_barrier_wait -1
	global_inv scope:SCOPE_SE
	s_cbranch_scc0 .LBB38_5
.LBB38_3:                               ; =>This Inner Loop Header: Depth=1
	v_mov_b32_e32 v6, 0x42f60000
	s_wait_loadcnt 0x0
	ds_store_b32 v1, v2
	s_wait_dscnt 0x0
	s_barrier_signal -1
	s_barrier_wait -1
	global_inv scope:SCOPE_SE
	s_and_saveexec_b32 s1, vcc_lo
	s_cbranch_execz .LBB38_2
; %bb.4:                                ;   in Loop: Header=BB38_3 Depth=1
	ds_load_b32 v6, v0
	s_branch .LBB38_2
.LBB38_5:
	s_add_nc_u64 s[0:1], s[6:7], s[2:3]
	s_wait_loadcnt 0x3
	global_store_b32 v1, v5, s[0:1]
	s_wait_loadcnt 0x2
	global_store_b32 v1, v4, s[0:1] offset:1024
	s_wait_loadcnt 0x1
	global_store_b32 v1, v3, s[0:1] offset:2048
	;; [unrolled: 2-line block ×3, first 2 shown]
	s_endpgm
	.section	.rodata,"a",@progbits
	.p2align	6, 0x0
	.amdhsa_kernel _Z6kernelI13subtract_leftLj256ELj4ELb1EJPfS1_jEEvDpT3_
		.amdhsa_group_segment_fixed_size 2048
		.amdhsa_private_segment_fixed_size 0
		.amdhsa_kernarg_size 20
		.amdhsa_user_sgpr_count 2
		.amdhsa_user_sgpr_dispatch_ptr 0
		.amdhsa_user_sgpr_queue_ptr 0
		.amdhsa_user_sgpr_kernarg_segment_ptr 1
		.amdhsa_user_sgpr_dispatch_id 0
		.amdhsa_user_sgpr_private_segment_size 0
		.amdhsa_wavefront_size32 1
		.amdhsa_uses_dynamic_stack 0
		.amdhsa_enable_private_segment 0
		.amdhsa_system_sgpr_workgroup_id_x 1
		.amdhsa_system_sgpr_workgroup_id_y 0
		.amdhsa_system_sgpr_workgroup_id_z 0
		.amdhsa_system_sgpr_workgroup_info 0
		.amdhsa_system_vgpr_workitem_id 0
		.amdhsa_next_free_vgpr 10
		.amdhsa_next_free_sgpr 8
		.amdhsa_reserve_vcc 1
		.amdhsa_float_round_mode_32 0
		.amdhsa_float_round_mode_16_64 0
		.amdhsa_float_denorm_mode_32 3
		.amdhsa_float_denorm_mode_16_64 3
		.amdhsa_fp16_overflow 0
		.amdhsa_workgroup_processor_mode 1
		.amdhsa_memory_ordered 1
		.amdhsa_forward_progress 1
		.amdhsa_inst_pref_size 3
		.amdhsa_round_robin_scheduling 0
		.amdhsa_exception_fp_ieee_invalid_op 0
		.amdhsa_exception_fp_denorm_src 0
		.amdhsa_exception_fp_ieee_div_zero 0
		.amdhsa_exception_fp_ieee_overflow 0
		.amdhsa_exception_fp_ieee_underflow 0
		.amdhsa_exception_fp_ieee_inexact 0
		.amdhsa_exception_int_div_zero 0
	.end_amdhsa_kernel
	.section	.text._Z6kernelI13subtract_leftLj256ELj4ELb1EJPfS1_jEEvDpT3_,"axG",@progbits,_Z6kernelI13subtract_leftLj256ELj4ELb1EJPfS1_jEEvDpT3_,comdat
.Lfunc_end38:
	.size	_Z6kernelI13subtract_leftLj256ELj4ELb1EJPfS1_jEEvDpT3_, .Lfunc_end38-_Z6kernelI13subtract_leftLj256ELj4ELb1EJPfS1_jEEvDpT3_
                                        ; -- End function
	.set _Z6kernelI13subtract_leftLj256ELj4ELb1EJPfS1_jEEvDpT3_.num_vgpr, 10
	.set _Z6kernelI13subtract_leftLj256ELj4ELb1EJPfS1_jEEvDpT3_.num_agpr, 0
	.set _Z6kernelI13subtract_leftLj256ELj4ELb1EJPfS1_jEEvDpT3_.numbered_sgpr, 8
	.set _Z6kernelI13subtract_leftLj256ELj4ELb1EJPfS1_jEEvDpT3_.num_named_barrier, 0
	.set _Z6kernelI13subtract_leftLj256ELj4ELb1EJPfS1_jEEvDpT3_.private_seg_size, 0
	.set _Z6kernelI13subtract_leftLj256ELj4ELb1EJPfS1_jEEvDpT3_.uses_vcc, 1
	.set _Z6kernelI13subtract_leftLj256ELj4ELb1EJPfS1_jEEvDpT3_.uses_flat_scratch, 0
	.set _Z6kernelI13subtract_leftLj256ELj4ELb1EJPfS1_jEEvDpT3_.has_dyn_sized_stack, 0
	.set _Z6kernelI13subtract_leftLj256ELj4ELb1EJPfS1_jEEvDpT3_.has_recursion, 0
	.set _Z6kernelI13subtract_leftLj256ELj4ELb1EJPfS1_jEEvDpT3_.has_indirect_call, 0
	.section	.AMDGPU.csdata,"",@progbits
; Kernel info:
; codeLenInByte = 328
; TotalNumSgprs: 10
; NumVgprs: 10
; ScratchSize: 0
; MemoryBound: 0
; FloatMode: 240
; IeeeMode: 1
; LDSByteSize: 2048 bytes/workgroup (compile time only)
; SGPRBlocks: 0
; VGPRBlocks: 1
; NumSGPRsForWavesPerEU: 10
; NumVGPRsForWavesPerEU: 10
; Occupancy: 16
; WaveLimiterHint : 1
; COMPUTE_PGM_RSRC2:SCRATCH_EN: 0
; COMPUTE_PGM_RSRC2:USER_SGPR: 2
; COMPUTE_PGM_RSRC2:TRAP_HANDLER: 0
; COMPUTE_PGM_RSRC2:TGID_X_EN: 1
; COMPUTE_PGM_RSRC2:TGID_Y_EN: 0
; COMPUTE_PGM_RSRC2:TGID_Z_EN: 0
; COMPUTE_PGM_RSRC2:TIDIG_COMP_CNT: 0
	.section	.text._Z6kernelI13subtract_leftLj256ELj8ELb1EJPfS1_jEEvDpT3_,"axG",@progbits,_Z6kernelI13subtract_leftLj256ELj8ELb1EJPfS1_jEEvDpT3_,comdat
	.protected	_Z6kernelI13subtract_leftLj256ELj8ELb1EJPfS1_jEEvDpT3_ ; -- Begin function _Z6kernelI13subtract_leftLj256ELj8ELb1EJPfS1_jEEvDpT3_
	.globl	_Z6kernelI13subtract_leftLj256ELj8ELb1EJPfS1_jEEvDpT3_
	.p2align	8
	.type	_Z6kernelI13subtract_leftLj256ELj8ELb1EJPfS1_jEEvDpT3_,@function
_Z6kernelI13subtract_leftLj256ELj8ELb1EJPfS1_jEEvDpT3_: ; @_Z6kernelI13subtract_leftLj256ELj8ELb1EJPfS1_jEEvDpT3_
; %bb.0:
	s_load_b128 s[4:7], s[0:1], 0x0
	s_lshl_b32 s2, ttmp9, 11
	s_mov_b32 s3, 0
	v_lshlrev_b32_e32 v1, 2, v0
	s_lshl_b64 s[2:3], s[2:3], 2
	s_load_b32 s0, s[0:1], 0x10
	s_wait_kmcnt 0x0
	s_add_nc_u64 s[4:5], s[4:5], s[2:3]
	s_clause 0x7
	global_load_b32 v9, v1, s[4:5]
	global_load_b32 v8, v1, s[4:5] offset:1024
	global_load_b32 v7, v1, s[4:5] offset:2048
	;; [unrolled: 1-line block ×7, first 2 shown]
	s_cmp_eq_u32 s0, 0
	s_cbranch_scc1 .LBB39_5
; %bb.1:
	v_cmp_ne_u32_e32 vcc_lo, 0, v0
	v_add_nc_u32_e32 v0, -4, v1
	s_branch .LBB39_3
.LBB39_2:                               ;   in Loop: Header=BB39_3 Depth=1
	s_or_b32 exec_lo, exec_lo, s1
	v_dual_sub_f32 v11, v2, v3 :: v_dual_sub_f32 v12, v3, v4
	s_wait_dscnt 0x0
	v_dual_sub_f32 v13, v4, v5 :: v_dual_sub_f32 v10, v9, v10
	v_dual_sub_f32 v14, v8, v9 :: v_dual_sub_f32 v15, v7, v8
	;; [unrolled: 1-line block ×3, first 2 shown]
	s_delay_alu instid0(VALU_DEP_3) | instskip(NEXT) | instid1(VALU_DEP_3)
	v_add_f32_e32 v9, v9, v10
	v_dual_add_f32 v8, v8, v14 :: v_dual_add_f32 v7, v7, v15
	s_delay_alu instid0(VALU_DEP_3)
	v_dual_add_f32 v6, v6, v16 :: v_dual_add_f32 v5, v5, v17
	v_add_f32_e32 v2, v2, v11
	v_dual_add_f32 v4, v4, v13 :: v_dual_add_f32 v3, v3, v12
	s_add_co_i32 s0, s0, -1
	s_wait_loadcnt 0x0
	s_cmp_lg_u32 s0, 0
	s_barrier_signal -1
	s_barrier_wait -1
	global_inv scope:SCOPE_SE
	s_cbranch_scc0 .LBB39_5
.LBB39_3:                               ; =>This Inner Loop Header: Depth=1
	v_mov_b32_e32 v10, 0x42f60000
	s_wait_loadcnt 0x0
	ds_store_b32 v1, v2
	s_wait_dscnt 0x0
	s_barrier_signal -1
	s_barrier_wait -1
	global_inv scope:SCOPE_SE
	s_and_saveexec_b32 s1, vcc_lo
	s_cbranch_execz .LBB39_2
; %bb.4:                                ;   in Loop: Header=BB39_3 Depth=1
	ds_load_b32 v10, v0
	s_branch .LBB39_2
.LBB39_5:
	s_add_nc_u64 s[0:1], s[6:7], s[2:3]
	s_wait_loadcnt 0x7
	global_store_b32 v1, v9, s[0:1]
	s_wait_loadcnt 0x6
	global_store_b32 v1, v8, s[0:1] offset:1024
	s_wait_loadcnt 0x5
	global_store_b32 v1, v7, s[0:1] offset:2048
	s_wait_loadcnt 0x4
	global_store_b32 v1, v6, s[0:1] offset:3072
	s_wait_loadcnt 0x3
	global_store_b32 v1, v5, s[0:1] offset:4096
	s_wait_loadcnt 0x2
	global_store_b32 v1, v4, s[0:1] offset:5120
	s_wait_loadcnt 0x1
	global_store_b32 v1, v3, s[0:1] offset:6144
	s_wait_loadcnt 0x0
	global_store_b32 v1, v2, s[0:1] offset:7168
	s_endpgm
	.section	.rodata,"a",@progbits
	.p2align	6, 0x0
	.amdhsa_kernel _Z6kernelI13subtract_leftLj256ELj8ELb1EJPfS1_jEEvDpT3_
		.amdhsa_group_segment_fixed_size 2048
		.amdhsa_private_segment_fixed_size 0
		.amdhsa_kernarg_size 20
		.amdhsa_user_sgpr_count 2
		.amdhsa_user_sgpr_dispatch_ptr 0
		.amdhsa_user_sgpr_queue_ptr 0
		.amdhsa_user_sgpr_kernarg_segment_ptr 1
		.amdhsa_user_sgpr_dispatch_id 0
		.amdhsa_user_sgpr_private_segment_size 0
		.amdhsa_wavefront_size32 1
		.amdhsa_uses_dynamic_stack 0
		.amdhsa_enable_private_segment 0
		.amdhsa_system_sgpr_workgroup_id_x 1
		.amdhsa_system_sgpr_workgroup_id_y 0
		.amdhsa_system_sgpr_workgroup_id_z 0
		.amdhsa_system_sgpr_workgroup_info 0
		.amdhsa_system_vgpr_workitem_id 0
		.amdhsa_next_free_vgpr 18
		.amdhsa_next_free_sgpr 8
		.amdhsa_reserve_vcc 1
		.amdhsa_float_round_mode_32 0
		.amdhsa_float_round_mode_16_64 0
		.amdhsa_float_denorm_mode_32 3
		.amdhsa_float_denorm_mode_16_64 3
		.amdhsa_fp16_overflow 0
		.amdhsa_workgroup_processor_mode 1
		.amdhsa_memory_ordered 1
		.amdhsa_forward_progress 1
		.amdhsa_inst_pref_size 4
		.amdhsa_round_robin_scheduling 0
		.amdhsa_exception_fp_ieee_invalid_op 0
		.amdhsa_exception_fp_denorm_src 0
		.amdhsa_exception_fp_ieee_div_zero 0
		.amdhsa_exception_fp_ieee_overflow 0
		.amdhsa_exception_fp_ieee_underflow 0
		.amdhsa_exception_fp_ieee_inexact 0
		.amdhsa_exception_int_div_zero 0
	.end_amdhsa_kernel
	.section	.text._Z6kernelI13subtract_leftLj256ELj8ELb1EJPfS1_jEEvDpT3_,"axG",@progbits,_Z6kernelI13subtract_leftLj256ELj8ELb1EJPfS1_jEEvDpT3_,comdat
.Lfunc_end39:
	.size	_Z6kernelI13subtract_leftLj256ELj8ELb1EJPfS1_jEEvDpT3_, .Lfunc_end39-_Z6kernelI13subtract_leftLj256ELj8ELb1EJPfS1_jEEvDpT3_
                                        ; -- End function
	.set _Z6kernelI13subtract_leftLj256ELj8ELb1EJPfS1_jEEvDpT3_.num_vgpr, 18
	.set _Z6kernelI13subtract_leftLj256ELj8ELb1EJPfS1_jEEvDpT3_.num_agpr, 0
	.set _Z6kernelI13subtract_leftLj256ELj8ELb1EJPfS1_jEEvDpT3_.numbered_sgpr, 8
	.set _Z6kernelI13subtract_leftLj256ELj8ELb1EJPfS1_jEEvDpT3_.num_named_barrier, 0
	.set _Z6kernelI13subtract_leftLj256ELj8ELb1EJPfS1_jEEvDpT3_.private_seg_size, 0
	.set _Z6kernelI13subtract_leftLj256ELj8ELb1EJPfS1_jEEvDpT3_.uses_vcc, 1
	.set _Z6kernelI13subtract_leftLj256ELj8ELb1EJPfS1_jEEvDpT3_.uses_flat_scratch, 0
	.set _Z6kernelI13subtract_leftLj256ELj8ELb1EJPfS1_jEEvDpT3_.has_dyn_sized_stack, 0
	.set _Z6kernelI13subtract_leftLj256ELj8ELb1EJPfS1_jEEvDpT3_.has_recursion, 0
	.set _Z6kernelI13subtract_leftLj256ELj8ELb1EJPfS1_jEEvDpT3_.has_indirect_call, 0
	.section	.AMDGPU.csdata,"",@progbits
; Kernel info:
; codeLenInByte = 476
; TotalNumSgprs: 10
; NumVgprs: 18
; ScratchSize: 0
; MemoryBound: 0
; FloatMode: 240
; IeeeMode: 1
; LDSByteSize: 2048 bytes/workgroup (compile time only)
; SGPRBlocks: 0
; VGPRBlocks: 2
; NumSGPRsForWavesPerEU: 10
; NumVGPRsForWavesPerEU: 18
; Occupancy: 16
; WaveLimiterHint : 1
; COMPUTE_PGM_RSRC2:SCRATCH_EN: 0
; COMPUTE_PGM_RSRC2:USER_SGPR: 2
; COMPUTE_PGM_RSRC2:TRAP_HANDLER: 0
; COMPUTE_PGM_RSRC2:TGID_X_EN: 1
; COMPUTE_PGM_RSRC2:TGID_Y_EN: 0
; COMPUTE_PGM_RSRC2:TGID_Z_EN: 0
; COMPUTE_PGM_RSRC2:TIDIG_COMP_CNT: 0
	.section	.text._Z6kernelI13subtract_leftLj256ELj16ELb1EJPfS1_jEEvDpT3_,"axG",@progbits,_Z6kernelI13subtract_leftLj256ELj16ELb1EJPfS1_jEEvDpT3_,comdat
	.protected	_Z6kernelI13subtract_leftLj256ELj16ELb1EJPfS1_jEEvDpT3_ ; -- Begin function _Z6kernelI13subtract_leftLj256ELj16ELb1EJPfS1_jEEvDpT3_
	.globl	_Z6kernelI13subtract_leftLj256ELj16ELb1EJPfS1_jEEvDpT3_
	.p2align	8
	.type	_Z6kernelI13subtract_leftLj256ELj16ELb1EJPfS1_jEEvDpT3_,@function
_Z6kernelI13subtract_leftLj256ELj16ELb1EJPfS1_jEEvDpT3_: ; @_Z6kernelI13subtract_leftLj256ELj16ELb1EJPfS1_jEEvDpT3_
; %bb.0:
	s_load_b128 s[4:7], s[0:1], 0x0
	s_lshl_b32 s2, ttmp9, 12
	s_mov_b32 s3, 0
	v_lshlrev_b32_e32 v1, 2, v0
	s_lshl_b64 s[2:3], s[2:3], 2
	s_load_b32 s0, s[0:1], 0x10
	s_wait_kmcnt 0x0
	s_add_nc_u64 s[4:5], s[4:5], s[2:3]
	s_clause 0xf
	global_load_b32 v17, v1, s[4:5]
	global_load_b32 v16, v1, s[4:5] offset:1024
	global_load_b32 v15, v1, s[4:5] offset:2048
	;; [unrolled: 1-line block ×15, first 2 shown]
	s_cmp_eq_u32 s0, 0
	s_cbranch_scc1 .LBB40_5
; %bb.1:
	v_cmp_ne_u32_e32 vcc_lo, 0, v0
	v_add_nc_u32_e32 v0, -4, v1
	s_branch .LBB40_3
.LBB40_2:                               ;   in Loop: Header=BB40_3 Depth=1
	s_or_b32 exec_lo, exec_lo, s1
	v_dual_sub_f32 v19, v2, v3 :: v_dual_sub_f32 v20, v3, v4
	v_dual_sub_f32 v21, v4, v5 :: v_dual_sub_f32 v22, v5, v6
	;; [unrolled: 1-line block ×5, first 2 shown]
	s_wait_dscnt 0x0
	v_dual_sub_f32 v29, v12, v13 :: v_dual_sub_f32 v18, v17, v18
	v_dual_sub_f32 v30, v16, v17 :: v_dual_sub_f32 v31, v15, v16
	;; [unrolled: 1-line block ×3, first 2 shown]
	s_delay_alu instid0(VALU_DEP_3) | instskip(NEXT) | instid1(VALU_DEP_3)
	v_add_f32_e32 v17, v17, v18
	v_dual_add_f32 v16, v16, v30 :: v_dual_add_f32 v15, v15, v31
	s_delay_alu instid0(VALU_DEP_3)
	v_dual_add_f32 v14, v14, v32 :: v_dual_add_f32 v13, v13, v33
	v_add_f32_e32 v10, v10, v27
	v_dual_add_f32 v12, v12, v29 :: v_dual_add_f32 v11, v11, v28
	v_dual_add_f32 v9, v9, v26 :: v_dual_add_f32 v8, v8, v25
	v_dual_add_f32 v7, v7, v24 :: v_dual_add_f32 v6, v6, v23
	v_dual_add_f32 v5, v5, v22 :: v_dual_add_f32 v4, v4, v21
	v_dual_add_f32 v3, v3, v20 :: v_dual_add_f32 v2, v2, v19
	s_add_co_i32 s0, s0, -1
	s_wait_loadcnt 0x0
	s_cmp_lg_u32 s0, 0
	s_barrier_signal -1
	s_barrier_wait -1
	global_inv scope:SCOPE_SE
	s_cbranch_scc0 .LBB40_5
.LBB40_3:                               ; =>This Inner Loop Header: Depth=1
	v_mov_b32_e32 v18, 0x42f60000
	s_wait_loadcnt 0x0
	ds_store_b32 v1, v2
	s_wait_dscnt 0x0
	s_barrier_signal -1
	s_barrier_wait -1
	global_inv scope:SCOPE_SE
	s_and_saveexec_b32 s1, vcc_lo
	s_cbranch_execz .LBB40_2
; %bb.4:                                ;   in Loop: Header=BB40_3 Depth=1
	ds_load_b32 v18, v0
	s_branch .LBB40_2
.LBB40_5:
	s_add_nc_u64 s[0:1], s[6:7], s[2:3]
	s_wait_loadcnt 0xf
	global_store_b32 v1, v17, s[0:1]
	s_wait_loadcnt 0xe
	global_store_b32 v1, v16, s[0:1] offset:1024
	s_wait_loadcnt 0xd
	global_store_b32 v1, v15, s[0:1] offset:2048
	;; [unrolled: 2-line block ×15, first 2 shown]
	s_endpgm
	.section	.rodata,"a",@progbits
	.p2align	6, 0x0
	.amdhsa_kernel _Z6kernelI13subtract_leftLj256ELj16ELb1EJPfS1_jEEvDpT3_
		.amdhsa_group_segment_fixed_size 2048
		.amdhsa_private_segment_fixed_size 0
		.amdhsa_kernarg_size 20
		.amdhsa_user_sgpr_count 2
		.amdhsa_user_sgpr_dispatch_ptr 0
		.amdhsa_user_sgpr_queue_ptr 0
		.amdhsa_user_sgpr_kernarg_segment_ptr 1
		.amdhsa_user_sgpr_dispatch_id 0
		.amdhsa_user_sgpr_private_segment_size 0
		.amdhsa_wavefront_size32 1
		.amdhsa_uses_dynamic_stack 0
		.amdhsa_enable_private_segment 0
		.amdhsa_system_sgpr_workgroup_id_x 1
		.amdhsa_system_sgpr_workgroup_id_y 0
		.amdhsa_system_sgpr_workgroup_id_z 0
		.amdhsa_system_sgpr_workgroup_info 0
		.amdhsa_system_vgpr_workitem_id 0
		.amdhsa_next_free_vgpr 34
		.amdhsa_next_free_sgpr 8
		.amdhsa_reserve_vcc 1
		.amdhsa_float_round_mode_32 0
		.amdhsa_float_round_mode_16_64 0
		.amdhsa_float_denorm_mode_32 3
		.amdhsa_float_denorm_mode_16_64 3
		.amdhsa_fp16_overflow 0
		.amdhsa_workgroup_processor_mode 1
		.amdhsa_memory_ordered 1
		.amdhsa_forward_progress 1
		.amdhsa_inst_pref_size 6
		.amdhsa_round_robin_scheduling 0
		.amdhsa_exception_fp_ieee_invalid_op 0
		.amdhsa_exception_fp_denorm_src 0
		.amdhsa_exception_fp_ieee_div_zero 0
		.amdhsa_exception_fp_ieee_overflow 0
		.amdhsa_exception_fp_ieee_underflow 0
		.amdhsa_exception_fp_ieee_inexact 0
		.amdhsa_exception_int_div_zero 0
	.end_amdhsa_kernel
	.section	.text._Z6kernelI13subtract_leftLj256ELj16ELb1EJPfS1_jEEvDpT3_,"axG",@progbits,_Z6kernelI13subtract_leftLj256ELj16ELb1EJPfS1_jEEvDpT3_,comdat
.Lfunc_end40:
	.size	_Z6kernelI13subtract_leftLj256ELj16ELb1EJPfS1_jEEvDpT3_, .Lfunc_end40-_Z6kernelI13subtract_leftLj256ELj16ELb1EJPfS1_jEEvDpT3_
                                        ; -- End function
	.set _Z6kernelI13subtract_leftLj256ELj16ELb1EJPfS1_jEEvDpT3_.num_vgpr, 34
	.set _Z6kernelI13subtract_leftLj256ELj16ELb1EJPfS1_jEEvDpT3_.num_agpr, 0
	.set _Z6kernelI13subtract_leftLj256ELj16ELb1EJPfS1_jEEvDpT3_.numbered_sgpr, 8
	.set _Z6kernelI13subtract_leftLj256ELj16ELb1EJPfS1_jEEvDpT3_.num_named_barrier, 0
	.set _Z6kernelI13subtract_leftLj256ELj16ELb1EJPfS1_jEEvDpT3_.private_seg_size, 0
	.set _Z6kernelI13subtract_leftLj256ELj16ELb1EJPfS1_jEEvDpT3_.uses_vcc, 1
	.set _Z6kernelI13subtract_leftLj256ELj16ELb1EJPfS1_jEEvDpT3_.uses_flat_scratch, 0
	.set _Z6kernelI13subtract_leftLj256ELj16ELb1EJPfS1_jEEvDpT3_.has_dyn_sized_stack, 0
	.set _Z6kernelI13subtract_leftLj256ELj16ELb1EJPfS1_jEEvDpT3_.has_recursion, 0
	.set _Z6kernelI13subtract_leftLj256ELj16ELb1EJPfS1_jEEvDpT3_.has_indirect_call, 0
	.section	.AMDGPU.csdata,"",@progbits
; Kernel info:
; codeLenInByte = 764
; TotalNumSgprs: 10
; NumVgprs: 34
; ScratchSize: 0
; MemoryBound: 0
; FloatMode: 240
; IeeeMode: 1
; LDSByteSize: 2048 bytes/workgroup (compile time only)
; SGPRBlocks: 0
; VGPRBlocks: 4
; NumSGPRsForWavesPerEU: 10
; NumVGPRsForWavesPerEU: 34
; Occupancy: 16
; WaveLimiterHint : 1
; COMPUTE_PGM_RSRC2:SCRATCH_EN: 0
; COMPUTE_PGM_RSRC2:USER_SGPR: 2
; COMPUTE_PGM_RSRC2:TRAP_HANDLER: 0
; COMPUTE_PGM_RSRC2:TGID_X_EN: 1
; COMPUTE_PGM_RSRC2:TGID_Y_EN: 0
; COMPUTE_PGM_RSRC2:TGID_Z_EN: 0
; COMPUTE_PGM_RSRC2:TIDIG_COMP_CNT: 0
	.section	.text._Z6kernelI13subtract_leftLj256ELj32ELb1EJPfS1_jEEvDpT3_,"axG",@progbits,_Z6kernelI13subtract_leftLj256ELj32ELb1EJPfS1_jEEvDpT3_,comdat
	.protected	_Z6kernelI13subtract_leftLj256ELj32ELb1EJPfS1_jEEvDpT3_ ; -- Begin function _Z6kernelI13subtract_leftLj256ELj32ELb1EJPfS1_jEEvDpT3_
	.globl	_Z6kernelI13subtract_leftLj256ELj32ELb1EJPfS1_jEEvDpT3_
	.p2align	8
	.type	_Z6kernelI13subtract_leftLj256ELj32ELb1EJPfS1_jEEvDpT3_,@function
_Z6kernelI13subtract_leftLj256ELj32ELb1EJPfS1_jEEvDpT3_: ; @_Z6kernelI13subtract_leftLj256ELj32ELb1EJPfS1_jEEvDpT3_
; %bb.0:
	s_load_b128 s[4:7], s[0:1], 0x0
	s_lshl_b32 s2, ttmp9, 13
	s_mov_b32 s3, 0
	v_lshlrev_b32_e32 v1, 2, v0
	s_lshl_b64 s[2:3], s[2:3], 2
	s_load_b32 s0, s[0:1], 0x10
	s_wait_kmcnt 0x0
	s_add_nc_u64 s[4:5], s[4:5], s[2:3]
	s_clause 0x1f
	global_load_b32 v33, v1, s[4:5]
	global_load_b32 v32, v1, s[4:5] offset:1024
	global_load_b32 v31, v1, s[4:5] offset:2048
	;; [unrolled: 1-line block ×31, first 2 shown]
	s_cmp_eq_u32 s0, 0
	s_cbranch_scc1 .LBB41_5
; %bb.1:
	v_cmp_ne_u32_e32 vcc_lo, 0, v0
	v_add_nc_u32_e32 v0, -4, v1
	s_branch .LBB41_3
.LBB41_2:                               ;   in Loop: Header=BB41_3 Depth=1
	s_or_b32 exec_lo, exec_lo, s1
	v_dual_sub_f32 v35, v2, v3 :: v_dual_sub_f32 v36, v3, v4
	v_dual_sub_f32 v37, v4, v5 :: v_dual_sub_f32 v38, v5, v6
	;; [unrolled: 1-line block ×13, first 2 shown]
	s_wait_dscnt 0x0
	v_dual_sub_f32 v61, v28, v29 :: v_dual_sub_f32 v34, v33, v34
	v_dual_sub_f32 v62, v32, v33 :: v_dual_sub_f32 v63, v31, v32
	;; [unrolled: 1-line block ×3, first 2 shown]
	s_delay_alu instid0(VALU_DEP_3) | instskip(NEXT) | instid1(VALU_DEP_3)
	v_add_f32_e32 v33, v33, v34
	v_dual_add_f32 v32, v32, v62 :: v_dual_add_f32 v31, v31, v63
	s_delay_alu instid0(VALU_DEP_3)
	v_dual_add_f32 v30, v30, v64 :: v_dual_add_f32 v29, v29, v65
	v_add_f32_e32 v26, v26, v59
	v_dual_add_f32 v28, v28, v61 :: v_dual_add_f32 v27, v27, v60
	v_dual_add_f32 v25, v25, v58 :: v_dual_add_f32 v24, v24, v57
	;; [unrolled: 1-line block ×13, first 2 shown]
	s_add_co_i32 s0, s0, -1
	s_wait_loadcnt 0x0
	s_cmp_lg_u32 s0, 0
	s_barrier_signal -1
	s_barrier_wait -1
	global_inv scope:SCOPE_SE
	s_cbranch_scc0 .LBB41_5
.LBB41_3:                               ; =>This Inner Loop Header: Depth=1
	v_mov_b32_e32 v34, 0x42f60000
	s_wait_loadcnt 0x0
	ds_store_b32 v1, v2
	s_wait_dscnt 0x0
	s_barrier_signal -1
	s_barrier_wait -1
	global_inv scope:SCOPE_SE
	s_and_saveexec_b32 s1, vcc_lo
	s_cbranch_execz .LBB41_2
; %bb.4:                                ;   in Loop: Header=BB41_3 Depth=1
	ds_load_b32 v34, v0
	s_branch .LBB41_2
.LBB41_5:
	s_add_nc_u64 s[0:1], s[6:7], s[2:3]
	s_wait_loadcnt 0x1f
	global_store_b32 v1, v33, s[0:1]
	s_wait_loadcnt 0x1e
	global_store_b32 v1, v32, s[0:1] offset:1024
	s_wait_loadcnt 0x1d
	global_store_b32 v1, v31, s[0:1] offset:2048
	;; [unrolled: 2-line block ×31, first 2 shown]
	s_endpgm
	.section	.rodata,"a",@progbits
	.p2align	6, 0x0
	.amdhsa_kernel _Z6kernelI13subtract_leftLj256ELj32ELb1EJPfS1_jEEvDpT3_
		.amdhsa_group_segment_fixed_size 2048
		.amdhsa_private_segment_fixed_size 0
		.amdhsa_kernarg_size 20
		.amdhsa_user_sgpr_count 2
		.amdhsa_user_sgpr_dispatch_ptr 0
		.amdhsa_user_sgpr_queue_ptr 0
		.amdhsa_user_sgpr_kernarg_segment_ptr 1
		.amdhsa_user_sgpr_dispatch_id 0
		.amdhsa_user_sgpr_private_segment_size 0
		.amdhsa_wavefront_size32 1
		.amdhsa_uses_dynamic_stack 0
		.amdhsa_enable_private_segment 0
		.amdhsa_system_sgpr_workgroup_id_x 1
		.amdhsa_system_sgpr_workgroup_id_y 0
		.amdhsa_system_sgpr_workgroup_id_z 0
		.amdhsa_system_sgpr_workgroup_info 0
		.amdhsa_system_vgpr_workitem_id 0
		.amdhsa_next_free_vgpr 66
		.amdhsa_next_free_sgpr 8
		.amdhsa_reserve_vcc 1
		.amdhsa_float_round_mode_32 0
		.amdhsa_float_round_mode_16_64 0
		.amdhsa_float_denorm_mode_32 3
		.amdhsa_float_denorm_mode_16_64 3
		.amdhsa_fp16_overflow 0
		.amdhsa_workgroup_processor_mode 1
		.amdhsa_memory_ordered 1
		.amdhsa_forward_progress 1
		.amdhsa_inst_pref_size 11
		.amdhsa_round_robin_scheduling 0
		.amdhsa_exception_fp_ieee_invalid_op 0
		.amdhsa_exception_fp_denorm_src 0
		.amdhsa_exception_fp_ieee_div_zero 0
		.amdhsa_exception_fp_ieee_overflow 0
		.amdhsa_exception_fp_ieee_underflow 0
		.amdhsa_exception_fp_ieee_inexact 0
		.amdhsa_exception_int_div_zero 0
	.end_amdhsa_kernel
	.section	.text._Z6kernelI13subtract_leftLj256ELj32ELb1EJPfS1_jEEvDpT3_,"axG",@progbits,_Z6kernelI13subtract_leftLj256ELj32ELb1EJPfS1_jEEvDpT3_,comdat
.Lfunc_end41:
	.size	_Z6kernelI13subtract_leftLj256ELj32ELb1EJPfS1_jEEvDpT3_, .Lfunc_end41-_Z6kernelI13subtract_leftLj256ELj32ELb1EJPfS1_jEEvDpT3_
                                        ; -- End function
	.set _Z6kernelI13subtract_leftLj256ELj32ELb1EJPfS1_jEEvDpT3_.num_vgpr, 66
	.set _Z6kernelI13subtract_leftLj256ELj32ELb1EJPfS1_jEEvDpT3_.num_agpr, 0
	.set _Z6kernelI13subtract_leftLj256ELj32ELb1EJPfS1_jEEvDpT3_.numbered_sgpr, 8
	.set _Z6kernelI13subtract_leftLj256ELj32ELb1EJPfS1_jEEvDpT3_.num_named_barrier, 0
	.set _Z6kernelI13subtract_leftLj256ELj32ELb1EJPfS1_jEEvDpT3_.private_seg_size, 0
	.set _Z6kernelI13subtract_leftLj256ELj32ELb1EJPfS1_jEEvDpT3_.uses_vcc, 1
	.set _Z6kernelI13subtract_leftLj256ELj32ELb1EJPfS1_jEEvDpT3_.uses_flat_scratch, 0
	.set _Z6kernelI13subtract_leftLj256ELj32ELb1EJPfS1_jEEvDpT3_.has_dyn_sized_stack, 0
	.set _Z6kernelI13subtract_leftLj256ELj32ELb1EJPfS1_jEEvDpT3_.has_recursion, 0
	.set _Z6kernelI13subtract_leftLj256ELj32ELb1EJPfS1_jEEvDpT3_.has_indirect_call, 0
	.section	.AMDGPU.csdata,"",@progbits
; Kernel info:
; codeLenInByte = 1340
; TotalNumSgprs: 10
; NumVgprs: 66
; ScratchSize: 0
; MemoryBound: 0
; FloatMode: 240
; IeeeMode: 1
; LDSByteSize: 2048 bytes/workgroup (compile time only)
; SGPRBlocks: 0
; VGPRBlocks: 8
; NumSGPRsForWavesPerEU: 10
; NumVGPRsForWavesPerEU: 66
; Occupancy: 16
; WaveLimiterHint : 1
; COMPUTE_PGM_RSRC2:SCRATCH_EN: 0
; COMPUTE_PGM_RSRC2:USER_SGPR: 2
; COMPUTE_PGM_RSRC2:TRAP_HANDLER: 0
; COMPUTE_PGM_RSRC2:TGID_X_EN: 1
; COMPUTE_PGM_RSRC2:TGID_Y_EN: 0
; COMPUTE_PGM_RSRC2:TGID_Z_EN: 0
; COMPUTE_PGM_RSRC2:TIDIG_COMP_CNT: 0
	.section	.text._Z6kernelI13subtract_leftLj256ELj1ELb1EJPaS1_jEEvDpT3_,"axG",@progbits,_Z6kernelI13subtract_leftLj256ELj1ELb1EJPaS1_jEEvDpT3_,comdat
	.protected	_Z6kernelI13subtract_leftLj256ELj1ELb1EJPaS1_jEEvDpT3_ ; -- Begin function _Z6kernelI13subtract_leftLj256ELj1ELb1EJPaS1_jEEvDpT3_
	.globl	_Z6kernelI13subtract_leftLj256ELj1ELb1EJPaS1_jEEvDpT3_
	.p2align	8
	.type	_Z6kernelI13subtract_leftLj256ELj1ELb1EJPaS1_jEEvDpT3_,@function
_Z6kernelI13subtract_leftLj256ELj1ELb1EJPaS1_jEEvDpT3_: ; @_Z6kernelI13subtract_leftLj256ELj1ELb1EJPaS1_jEEvDpT3_
; %bb.0:
	s_load_b128 s[4:7], s[0:1], 0x0
	s_lshl_b32 s2, ttmp9, 8
	s_mov_b32 s3, 0
	s_load_b32 s0, s[0:1], 0x10
	s_wait_kmcnt 0x0
	s_add_nc_u64 s[4:5], s[4:5], s[2:3]
	global_load_u8 v1, v0, s[4:5]
	s_cmp_eq_u32 s0, 0
	s_cbranch_scc1 .LBB42_5
; %bb.1:
	v_add_nc_u32_e32 v2, -1, v0
	v_cmp_ne_u32_e32 vcc_lo, 0, v0
	s_branch .LBB42_3
.LBB42_2:                               ;   in Loop: Header=BB42_3 Depth=1
	s_or_b32 exec_lo, exec_lo, s1
	v_lshlrev_b16 v1, 1, v1
	s_add_co_i32 s0, s0, -1
	s_wait_loadcnt_dscnt 0x0
	s_cmp_lg_u32 s0, 0
	s_barrier_signal -1
	v_sub_nc_u16 v1, v1, v3
	s_barrier_wait -1
	global_inv scope:SCOPE_SE
	s_cbranch_scc0 .LBB42_5
.LBB42_3:                               ; =>This Inner Loop Header: Depth=1
	v_mov_b32_e32 v3, 0x7b
	s_wait_loadcnt 0x0
	ds_store_b8 v0, v1
	s_wait_dscnt 0x0
	s_barrier_signal -1
	s_barrier_wait -1
	global_inv scope:SCOPE_SE
	s_and_saveexec_b32 s1, vcc_lo
	s_cbranch_execz .LBB42_2
; %bb.4:                                ;   in Loop: Header=BB42_3 Depth=1
	ds_load_u8 v3, v2
	s_branch .LBB42_2
.LBB42_5:
	s_add_nc_u64 s[0:1], s[6:7], s[2:3]
	s_delay_alu instid0(SALU_CYCLE_1)
	v_add_co_u32 v2, s0, s0, v0
	s_wait_alu 0xf1ff
	v_add_co_ci_u32_e64 v3, null, s1, 0, s0
	s_wait_loadcnt 0x0
	global_store_b8 v[2:3], v1, off
	s_endpgm
	.section	.rodata,"a",@progbits
	.p2align	6, 0x0
	.amdhsa_kernel _Z6kernelI13subtract_leftLj256ELj1ELb1EJPaS1_jEEvDpT3_
		.amdhsa_group_segment_fixed_size 512
		.amdhsa_private_segment_fixed_size 0
		.amdhsa_kernarg_size 20
		.amdhsa_user_sgpr_count 2
		.amdhsa_user_sgpr_dispatch_ptr 0
		.amdhsa_user_sgpr_queue_ptr 0
		.amdhsa_user_sgpr_kernarg_segment_ptr 1
		.amdhsa_user_sgpr_dispatch_id 0
		.amdhsa_user_sgpr_private_segment_size 0
		.amdhsa_wavefront_size32 1
		.amdhsa_uses_dynamic_stack 0
		.amdhsa_enable_private_segment 0
		.amdhsa_system_sgpr_workgroup_id_x 1
		.amdhsa_system_sgpr_workgroup_id_y 0
		.amdhsa_system_sgpr_workgroup_id_z 0
		.amdhsa_system_sgpr_workgroup_info 0
		.amdhsa_system_vgpr_workitem_id 0
		.amdhsa_next_free_vgpr 4
		.amdhsa_next_free_sgpr 8
		.amdhsa_reserve_vcc 1
		.amdhsa_float_round_mode_32 0
		.amdhsa_float_round_mode_16_64 0
		.amdhsa_float_denorm_mode_32 3
		.amdhsa_float_denorm_mode_16_64 3
		.amdhsa_fp16_overflow 0
		.amdhsa_workgroup_processor_mode 1
		.amdhsa_memory_ordered 1
		.amdhsa_forward_progress 1
		.amdhsa_inst_pref_size 2
		.amdhsa_round_robin_scheduling 0
		.amdhsa_exception_fp_ieee_invalid_op 0
		.amdhsa_exception_fp_denorm_src 0
		.amdhsa_exception_fp_ieee_div_zero 0
		.amdhsa_exception_fp_ieee_overflow 0
		.amdhsa_exception_fp_ieee_underflow 0
		.amdhsa_exception_fp_ieee_inexact 0
		.amdhsa_exception_int_div_zero 0
	.end_amdhsa_kernel
	.section	.text._Z6kernelI13subtract_leftLj256ELj1ELb1EJPaS1_jEEvDpT3_,"axG",@progbits,_Z6kernelI13subtract_leftLj256ELj1ELb1EJPaS1_jEEvDpT3_,comdat
.Lfunc_end42:
	.size	_Z6kernelI13subtract_leftLj256ELj1ELb1EJPaS1_jEEvDpT3_, .Lfunc_end42-_Z6kernelI13subtract_leftLj256ELj1ELb1EJPaS1_jEEvDpT3_
                                        ; -- End function
	.set _Z6kernelI13subtract_leftLj256ELj1ELb1EJPaS1_jEEvDpT3_.num_vgpr, 4
	.set _Z6kernelI13subtract_leftLj256ELj1ELb1EJPaS1_jEEvDpT3_.num_agpr, 0
	.set _Z6kernelI13subtract_leftLj256ELj1ELb1EJPaS1_jEEvDpT3_.numbered_sgpr, 8
	.set _Z6kernelI13subtract_leftLj256ELj1ELb1EJPaS1_jEEvDpT3_.num_named_barrier, 0
	.set _Z6kernelI13subtract_leftLj256ELj1ELb1EJPaS1_jEEvDpT3_.private_seg_size, 0
	.set _Z6kernelI13subtract_leftLj256ELj1ELb1EJPaS1_jEEvDpT3_.uses_vcc, 1
	.set _Z6kernelI13subtract_leftLj256ELj1ELb1EJPaS1_jEEvDpT3_.uses_flat_scratch, 0
	.set _Z6kernelI13subtract_leftLj256ELj1ELb1EJPaS1_jEEvDpT3_.has_dyn_sized_stack, 0
	.set _Z6kernelI13subtract_leftLj256ELj1ELb1EJPaS1_jEEvDpT3_.has_recursion, 0
	.set _Z6kernelI13subtract_leftLj256ELj1ELb1EJPaS1_jEEvDpT3_.has_indirect_call, 0
	.section	.AMDGPU.csdata,"",@progbits
; Kernel info:
; codeLenInByte = 232
; TotalNumSgprs: 10
; NumVgprs: 4
; ScratchSize: 0
; MemoryBound: 0
; FloatMode: 240
; IeeeMode: 1
; LDSByteSize: 512 bytes/workgroup (compile time only)
; SGPRBlocks: 0
; VGPRBlocks: 0
; NumSGPRsForWavesPerEU: 10
; NumVGPRsForWavesPerEU: 4
; Occupancy: 16
; WaveLimiterHint : 0
; COMPUTE_PGM_RSRC2:SCRATCH_EN: 0
; COMPUTE_PGM_RSRC2:USER_SGPR: 2
; COMPUTE_PGM_RSRC2:TRAP_HANDLER: 0
; COMPUTE_PGM_RSRC2:TGID_X_EN: 1
; COMPUTE_PGM_RSRC2:TGID_Y_EN: 0
; COMPUTE_PGM_RSRC2:TGID_Z_EN: 0
; COMPUTE_PGM_RSRC2:TIDIG_COMP_CNT: 0
	.section	.text._Z6kernelI13subtract_leftLj256ELj3ELb1EJPaS1_jEEvDpT3_,"axG",@progbits,_Z6kernelI13subtract_leftLj256ELj3ELb1EJPaS1_jEEvDpT3_,comdat
	.protected	_Z6kernelI13subtract_leftLj256ELj3ELb1EJPaS1_jEEvDpT3_ ; -- Begin function _Z6kernelI13subtract_leftLj256ELj3ELb1EJPaS1_jEEvDpT3_
	.globl	_Z6kernelI13subtract_leftLj256ELj3ELb1EJPaS1_jEEvDpT3_
	.p2align	8
	.type	_Z6kernelI13subtract_leftLj256ELj3ELb1EJPaS1_jEEvDpT3_,@function
_Z6kernelI13subtract_leftLj256ELj3ELb1EJPaS1_jEEvDpT3_: ; @_Z6kernelI13subtract_leftLj256ELj3ELb1EJPaS1_jEEvDpT3_
; %bb.0:
	s_load_b128 s[4:7], s[0:1], 0x0
	s_mul_i32 s2, ttmp9, 0x300
	s_mov_b32 s3, 0
	s_load_b32 s0, s[0:1], 0x10
	s_wait_kmcnt 0x0
	s_add_nc_u64 s[4:5], s[4:5], s[2:3]
	s_clause 0x2
	global_load_u8 v1, v0, s[4:5] offset:256
	global_load_u8 v2, v0, s[4:5] offset:512
	global_load_u8 v3, v0, s[4:5]
	s_cmp_eq_u32 s0, 0
	s_wait_loadcnt 0x0
	v_perm_b32 v1, v3, v1, 0xc0c0004
	s_delay_alu instid0(VALU_DEP_1)
	v_lshl_or_b32 v1, v2, 16, v1
	s_cbranch_scc1 .LBB43_5
; %bb.1:
	v_add_nc_u32_e32 v2, -1, v0
	v_cmp_ne_u32_e32 vcc_lo, 0, v0
	s_branch .LBB43_3
.LBB43_2:                               ;   in Loop: Header=BB43_3 Depth=1
	s_or_b32 exec_lo, exec_lo, s1
	v_lshrrev_b32_e32 v4, 8, v1
	v_lshrrev_b32_e32 v5, 16, v1
	v_lshlrev_b16 v7, 1, v1
	s_add_co_i32 s0, s0, -1
	s_wait_loadcnt_dscnt 0x0
	v_lshlrev_b16 v6, 1, v4
	v_lshlrev_b16 v5, 1, v5
	v_sub_nc_u16 v3, v7, v3
	s_cmp_lg_u32 s0, 0
	s_barrier_signal -1
	v_sub_nc_u16 v1, v6, v1
	v_sub_nc_u16 v4, v5, v4
	s_barrier_wait -1
	global_inv scope:SCOPE_SE
	v_lshlrev_b16 v1, 8, v1
	v_and_b32_e32 v4, 0xff, v4
	s_delay_alu instid0(VALU_DEP_2) | instskip(NEXT) | instid1(VALU_DEP_2)
	v_perm_b32 v1, v3, v1, 0xc0c0104
	v_lshlrev_b32_e32 v3, 16, v4
	s_delay_alu instid0(VALU_DEP_1)
	v_or_b32_e32 v1, v1, v3
	s_cbranch_scc0 .LBB43_5
.LBB43_3:                               ; =>This Inner Loop Header: Depth=1
	v_mov_b32_e32 v3, 0x7b
	ds_store_b8_d16_hi v0, v1
	s_wait_dscnt 0x0
	s_barrier_signal -1
	s_barrier_wait -1
	global_inv scope:SCOPE_SE
	s_and_saveexec_b32 s1, vcc_lo
	s_cbranch_execz .LBB43_2
; %bb.4:                                ;   in Loop: Header=BB43_3 Depth=1
	ds_load_u8 v3, v2
	s_branch .LBB43_2
.LBB43_5:
	s_add_nc_u64 s[0:1], s[6:7], s[2:3]
	s_delay_alu instid0(SALU_CYCLE_1)
	v_add_co_u32 v2, s0, s0, v0
	s_wait_alu 0xf1ff
	v_add_co_ci_u32_e64 v3, null, s1, 0, s0
	v_lshrrev_b32_e32 v0, 8, v1
	s_clause 0x2
	global_store_b8 v[2:3], v1, off
	global_store_b8 v[2:3], v0, off offset:256
	global_store_d16_hi_b8 v[2:3], v1, off offset:512
	s_endpgm
	.section	.rodata,"a",@progbits
	.p2align	6, 0x0
	.amdhsa_kernel _Z6kernelI13subtract_leftLj256ELj3ELb1EJPaS1_jEEvDpT3_
		.amdhsa_group_segment_fixed_size 512
		.amdhsa_private_segment_fixed_size 0
		.amdhsa_kernarg_size 20
		.amdhsa_user_sgpr_count 2
		.amdhsa_user_sgpr_dispatch_ptr 0
		.amdhsa_user_sgpr_queue_ptr 0
		.amdhsa_user_sgpr_kernarg_segment_ptr 1
		.amdhsa_user_sgpr_dispatch_id 0
		.amdhsa_user_sgpr_private_segment_size 0
		.amdhsa_wavefront_size32 1
		.amdhsa_uses_dynamic_stack 0
		.amdhsa_enable_private_segment 0
		.amdhsa_system_sgpr_workgroup_id_x 1
		.amdhsa_system_sgpr_workgroup_id_y 0
		.amdhsa_system_sgpr_workgroup_id_z 0
		.amdhsa_system_sgpr_workgroup_info 0
		.amdhsa_system_vgpr_workitem_id 0
		.amdhsa_next_free_vgpr 8
		.amdhsa_next_free_sgpr 8
		.amdhsa_reserve_vcc 1
		.amdhsa_float_round_mode_32 0
		.amdhsa_float_round_mode_16_64 0
		.amdhsa_float_denorm_mode_32 3
		.amdhsa_float_denorm_mode_16_64 3
		.amdhsa_fp16_overflow 0
		.amdhsa_workgroup_processor_mode 1
		.amdhsa_memory_ordered 1
		.amdhsa_forward_progress 1
		.amdhsa_inst_pref_size 4
		.amdhsa_round_robin_scheduling 0
		.amdhsa_exception_fp_ieee_invalid_op 0
		.amdhsa_exception_fp_denorm_src 0
		.amdhsa_exception_fp_ieee_div_zero 0
		.amdhsa_exception_fp_ieee_overflow 0
		.amdhsa_exception_fp_ieee_underflow 0
		.amdhsa_exception_fp_ieee_inexact 0
		.amdhsa_exception_int_div_zero 0
	.end_amdhsa_kernel
	.section	.text._Z6kernelI13subtract_leftLj256ELj3ELb1EJPaS1_jEEvDpT3_,"axG",@progbits,_Z6kernelI13subtract_leftLj256ELj3ELb1EJPaS1_jEEvDpT3_,comdat
.Lfunc_end43:
	.size	_Z6kernelI13subtract_leftLj256ELj3ELb1EJPaS1_jEEvDpT3_, .Lfunc_end43-_Z6kernelI13subtract_leftLj256ELj3ELb1EJPaS1_jEEvDpT3_
                                        ; -- End function
	.set _Z6kernelI13subtract_leftLj256ELj3ELb1EJPaS1_jEEvDpT3_.num_vgpr, 8
	.set _Z6kernelI13subtract_leftLj256ELj3ELb1EJPaS1_jEEvDpT3_.num_agpr, 0
	.set _Z6kernelI13subtract_leftLj256ELj3ELb1EJPaS1_jEEvDpT3_.numbered_sgpr, 8
	.set _Z6kernelI13subtract_leftLj256ELj3ELb1EJPaS1_jEEvDpT3_.num_named_barrier, 0
	.set _Z6kernelI13subtract_leftLj256ELj3ELb1EJPaS1_jEEvDpT3_.private_seg_size, 0
	.set _Z6kernelI13subtract_leftLj256ELj3ELb1EJPaS1_jEEvDpT3_.uses_vcc, 1
	.set _Z6kernelI13subtract_leftLj256ELj3ELb1EJPaS1_jEEvDpT3_.uses_flat_scratch, 0
	.set _Z6kernelI13subtract_leftLj256ELj3ELb1EJPaS1_jEEvDpT3_.has_dyn_sized_stack, 0
	.set _Z6kernelI13subtract_leftLj256ELj3ELb1EJPaS1_jEEvDpT3_.has_recursion, 0
	.set _Z6kernelI13subtract_leftLj256ELj3ELb1EJPaS1_jEEvDpT3_.has_indirect_call, 0
	.section	.AMDGPU.csdata,"",@progbits
; Kernel info:
; codeLenInByte = 400
; TotalNumSgprs: 10
; NumVgprs: 8
; ScratchSize: 0
; MemoryBound: 0
; FloatMode: 240
; IeeeMode: 1
; LDSByteSize: 512 bytes/workgroup (compile time only)
; SGPRBlocks: 0
; VGPRBlocks: 0
; NumSGPRsForWavesPerEU: 10
; NumVGPRsForWavesPerEU: 8
; Occupancy: 16
; WaveLimiterHint : 1
; COMPUTE_PGM_RSRC2:SCRATCH_EN: 0
; COMPUTE_PGM_RSRC2:USER_SGPR: 2
; COMPUTE_PGM_RSRC2:TRAP_HANDLER: 0
; COMPUTE_PGM_RSRC2:TGID_X_EN: 1
; COMPUTE_PGM_RSRC2:TGID_Y_EN: 0
; COMPUTE_PGM_RSRC2:TGID_Z_EN: 0
; COMPUTE_PGM_RSRC2:TIDIG_COMP_CNT: 0
	.section	.text._Z6kernelI13subtract_leftLj256ELj4ELb1EJPaS1_jEEvDpT3_,"axG",@progbits,_Z6kernelI13subtract_leftLj256ELj4ELb1EJPaS1_jEEvDpT3_,comdat
	.protected	_Z6kernelI13subtract_leftLj256ELj4ELb1EJPaS1_jEEvDpT3_ ; -- Begin function _Z6kernelI13subtract_leftLj256ELj4ELb1EJPaS1_jEEvDpT3_
	.globl	_Z6kernelI13subtract_leftLj256ELj4ELb1EJPaS1_jEEvDpT3_
	.p2align	8
	.type	_Z6kernelI13subtract_leftLj256ELj4ELb1EJPaS1_jEEvDpT3_,@function
_Z6kernelI13subtract_leftLj256ELj4ELb1EJPaS1_jEEvDpT3_: ; @_Z6kernelI13subtract_leftLj256ELj4ELb1EJPaS1_jEEvDpT3_
; %bb.0:
	s_load_b128 s[4:7], s[0:1], 0x0
	s_lshl_b32 s2, ttmp9, 10
	s_mov_b32 s3, 0
	s_load_b32 s0, s[0:1], 0x10
	s_wait_kmcnt 0x0
	s_add_nc_u64 s[4:5], s[4:5], s[2:3]
	s_clause 0x3
	global_load_u8 v1, v0, s[4:5] offset:256
	global_load_u8 v2, v0, s[4:5] offset:512
	global_load_u8 v3, v0, s[4:5]
	global_load_u8 v4, v0, s[4:5] offset:768
	s_cmp_eq_u32 s0, 0
	s_wait_loadcnt 0x1
	v_perm_b32 v1, v3, v1, 0xc0c0004
	s_wait_loadcnt 0x0
	v_perm_b32 v2, v2, v4, 0xc0c0004
	s_delay_alu instid0(VALU_DEP_1)
	v_lshl_or_b32 v1, v2, 16, v1
	s_cbranch_scc1 .LBB44_5
; %bb.1:
	v_add_nc_u32_e32 v2, -1, v0
	v_cmp_ne_u32_e32 vcc_lo, 0, v0
	s_branch .LBB44_3
.LBB44_2:                               ;   in Loop: Header=BB44_3 Depth=1
	s_or_b32 exec_lo, exec_lo, s1
	v_lshrrev_b32_e32 v4, 23, v1
	v_lshrrev_b32_e32 v5, 16, v1
	v_lshrrev_b16 v6, 8, v1
	v_lshlrev_b16 v7, 1, v1
	s_add_co_i32 s0, s0, -1
	v_and_b32_e32 v4, 0xfe, v4
	v_lshlrev_b16 v8, 1, v5
	v_lshlrev_b16 v9, 1, v6
	s_wait_dscnt 0x0
	v_sub_nc_u16 v3, v7, v3
	s_cmp_lg_u32 s0, 0
	v_sub_nc_u16 v4, v4, v5
	v_sub_nc_u16 v5, v8, v6
	;; [unrolled: 1-line block ×3, first 2 shown]
	v_and_b32_e32 v3, 0xff, v3
	s_wait_loadcnt 0x0
	v_lshlrev_b16 v4, 8, v4
	v_and_b32_e32 v5, 0xff, v5
	v_lshlrev_b16 v1, 8, v1
	s_barrier_signal -1
	s_barrier_wait -1
	global_inv scope:SCOPE_SE
	v_or_b32_e32 v4, v5, v4
	v_or_b32_e32 v1, v3, v1
	s_delay_alu instid0(VALU_DEP_2) | instskip(NEXT) | instid1(VALU_DEP_2)
	v_lshlrev_b32_e32 v3, 16, v4
	v_and_b32_e32 v1, 0xffff, v1
	s_delay_alu instid0(VALU_DEP_1)
	v_or_b32_e32 v1, v1, v3
	s_cbranch_scc0 .LBB44_5
.LBB44_3:                               ; =>This Inner Loop Header: Depth=1
	s_delay_alu instid0(VALU_DEP_1)
	v_lshrrev_b32_e32 v4, 24, v1
	v_mov_b32_e32 v3, 0x7b
	ds_store_b8 v0, v4
	s_wait_dscnt 0x0
	s_barrier_signal -1
	s_barrier_wait -1
	global_inv scope:SCOPE_SE
	s_and_saveexec_b32 s1, vcc_lo
	s_cbranch_execz .LBB44_2
; %bb.4:                                ;   in Loop: Header=BB44_3 Depth=1
	ds_load_u8 v3, v2
	s_branch .LBB44_2
.LBB44_5:
	s_add_nc_u64 s[0:1], s[6:7], s[2:3]
	s_delay_alu instid0(VALU_DEP_1)
	v_lshrrev_b32_e32 v4, 24, v1
	v_add_co_u32 v2, s0, s0, v0
	s_wait_alu 0xf1ff
	v_add_co_ci_u32_e64 v3, null, s1, 0, s0
	v_lshrrev_b32_e32 v0, 8, v1
	s_clause 0x3
	global_store_b8 v[2:3], v1, off
	global_store_b8 v[2:3], v0, off offset:256
	global_store_d16_hi_b8 v[2:3], v1, off offset:512
	global_store_b8 v[2:3], v4, off offset:768
	s_endpgm
	.section	.rodata,"a",@progbits
	.p2align	6, 0x0
	.amdhsa_kernel _Z6kernelI13subtract_leftLj256ELj4ELb1EJPaS1_jEEvDpT3_
		.amdhsa_group_segment_fixed_size 512
		.amdhsa_private_segment_fixed_size 0
		.amdhsa_kernarg_size 20
		.amdhsa_user_sgpr_count 2
		.amdhsa_user_sgpr_dispatch_ptr 0
		.amdhsa_user_sgpr_queue_ptr 0
		.amdhsa_user_sgpr_kernarg_segment_ptr 1
		.amdhsa_user_sgpr_dispatch_id 0
		.amdhsa_user_sgpr_private_segment_size 0
		.amdhsa_wavefront_size32 1
		.amdhsa_uses_dynamic_stack 0
		.amdhsa_enable_private_segment 0
		.amdhsa_system_sgpr_workgroup_id_x 1
		.amdhsa_system_sgpr_workgroup_id_y 0
		.amdhsa_system_sgpr_workgroup_id_z 0
		.amdhsa_system_sgpr_workgroup_info 0
		.amdhsa_system_vgpr_workitem_id 0
		.amdhsa_next_free_vgpr 10
		.amdhsa_next_free_sgpr 8
		.amdhsa_reserve_vcc 1
		.amdhsa_float_round_mode_32 0
		.amdhsa_float_round_mode_16_64 0
		.amdhsa_float_denorm_mode_32 3
		.amdhsa_float_denorm_mode_16_64 3
		.amdhsa_fp16_overflow 0
		.amdhsa_workgroup_processor_mode 1
		.amdhsa_memory_ordered 1
		.amdhsa_forward_progress 1
		.amdhsa_inst_pref_size 4
		.amdhsa_round_robin_scheduling 0
		.amdhsa_exception_fp_ieee_invalid_op 0
		.amdhsa_exception_fp_denorm_src 0
		.amdhsa_exception_fp_ieee_div_zero 0
		.amdhsa_exception_fp_ieee_overflow 0
		.amdhsa_exception_fp_ieee_underflow 0
		.amdhsa_exception_fp_ieee_inexact 0
		.amdhsa_exception_int_div_zero 0
	.end_amdhsa_kernel
	.section	.text._Z6kernelI13subtract_leftLj256ELj4ELb1EJPaS1_jEEvDpT3_,"axG",@progbits,_Z6kernelI13subtract_leftLj256ELj4ELb1EJPaS1_jEEvDpT3_,comdat
.Lfunc_end44:
	.size	_Z6kernelI13subtract_leftLj256ELj4ELb1EJPaS1_jEEvDpT3_, .Lfunc_end44-_Z6kernelI13subtract_leftLj256ELj4ELb1EJPaS1_jEEvDpT3_
                                        ; -- End function
	.set _Z6kernelI13subtract_leftLj256ELj4ELb1EJPaS1_jEEvDpT3_.num_vgpr, 10
	.set _Z6kernelI13subtract_leftLj256ELj4ELb1EJPaS1_jEEvDpT3_.num_agpr, 0
	.set _Z6kernelI13subtract_leftLj256ELj4ELb1EJPaS1_jEEvDpT3_.numbered_sgpr, 8
	.set _Z6kernelI13subtract_leftLj256ELj4ELb1EJPaS1_jEEvDpT3_.num_named_barrier, 0
	.set _Z6kernelI13subtract_leftLj256ELj4ELb1EJPaS1_jEEvDpT3_.private_seg_size, 0
	.set _Z6kernelI13subtract_leftLj256ELj4ELb1EJPaS1_jEEvDpT3_.uses_vcc, 1
	.set _Z6kernelI13subtract_leftLj256ELj4ELb1EJPaS1_jEEvDpT3_.uses_flat_scratch, 0
	.set _Z6kernelI13subtract_leftLj256ELj4ELb1EJPaS1_jEEvDpT3_.has_dyn_sized_stack, 0
	.set _Z6kernelI13subtract_leftLj256ELj4ELb1EJPaS1_jEEvDpT3_.has_recursion, 0
	.set _Z6kernelI13subtract_leftLj256ELj4ELb1EJPaS1_jEEvDpT3_.has_indirect_call, 0
	.section	.AMDGPU.csdata,"",@progbits
; Kernel info:
; codeLenInByte = 496
; TotalNumSgprs: 10
; NumVgprs: 10
; ScratchSize: 0
; MemoryBound: 0
; FloatMode: 240
; IeeeMode: 1
; LDSByteSize: 512 bytes/workgroup (compile time only)
; SGPRBlocks: 0
; VGPRBlocks: 1
; NumSGPRsForWavesPerEU: 10
; NumVGPRsForWavesPerEU: 10
; Occupancy: 16
; WaveLimiterHint : 1
; COMPUTE_PGM_RSRC2:SCRATCH_EN: 0
; COMPUTE_PGM_RSRC2:USER_SGPR: 2
; COMPUTE_PGM_RSRC2:TRAP_HANDLER: 0
; COMPUTE_PGM_RSRC2:TGID_X_EN: 1
; COMPUTE_PGM_RSRC2:TGID_Y_EN: 0
; COMPUTE_PGM_RSRC2:TGID_Z_EN: 0
; COMPUTE_PGM_RSRC2:TIDIG_COMP_CNT: 0
	.section	.text._Z6kernelI13subtract_leftLj256ELj8ELb1EJPaS1_jEEvDpT3_,"axG",@progbits,_Z6kernelI13subtract_leftLj256ELj8ELb1EJPaS1_jEEvDpT3_,comdat
	.protected	_Z6kernelI13subtract_leftLj256ELj8ELb1EJPaS1_jEEvDpT3_ ; -- Begin function _Z6kernelI13subtract_leftLj256ELj8ELb1EJPaS1_jEEvDpT3_
	.globl	_Z6kernelI13subtract_leftLj256ELj8ELb1EJPaS1_jEEvDpT3_
	.p2align	8
	.type	_Z6kernelI13subtract_leftLj256ELj8ELb1EJPaS1_jEEvDpT3_,@function
_Z6kernelI13subtract_leftLj256ELj8ELb1EJPaS1_jEEvDpT3_: ; @_Z6kernelI13subtract_leftLj256ELj8ELb1EJPaS1_jEEvDpT3_
; %bb.0:
	s_load_b128 s[4:7], s[0:1], 0x0
	s_lshl_b32 s2, ttmp9, 11
	s_mov_b32 s3, 0
	s_load_b32 s0, s[0:1], 0x10
	s_wait_kmcnt 0x0
	s_add_nc_u64 s[4:5], s[4:5], s[2:3]
	s_clause 0x7
	global_load_u8 v1, v0, s[4:5] offset:256
	global_load_u8 v2, v0, s[4:5] offset:1536
	;; [unrolled: 1-line block ×4, first 2 shown]
	global_load_u8 v5, v0, s[4:5]
	global_load_u8 v6, v0, s[4:5] offset:768
	global_load_u8 v7, v0, s[4:5] offset:1280
	;; [unrolled: 1-line block ×3, first 2 shown]
	s_cmp_eq_u32 s0, 0
	s_wait_loadcnt 0x3
	v_perm_b32 v1, v5, v1, 0xc0c0004
	s_wait_loadcnt 0x2
	v_perm_b32 v4, v4, v6, 0xc0c0004
	;; [unrolled: 2-line block ×4, first 2 shown]
	v_lshl_or_b32 v1, v4, 16, v1
	s_delay_alu instid0(VALU_DEP_2)
	v_lshl_or_b32 v2, v2, 16, v3
	s_cbranch_scc1 .LBB45_5
; %bb.1:
	v_add_nc_u32_e32 v3, -1, v0
	v_cmp_ne_u32_e32 vcc_lo, 0, v0
	s_branch .LBB45_3
.LBB45_2:                               ;   in Loop: Header=BB45_3 Depth=1
	s_or_b32 exec_lo, exec_lo, s1
	v_lshrrev_b32_e32 v8, 8, v1
	v_lshrrev_b32_e32 v9, 16, v1
	v_lshrrev_b64 v[6:7], 24, v[1:2]
	v_lshrrev_b32_e32 v10, 8, v2
	v_lshlrev_b16 v11, 1, v1
	v_lshlrev_b16 v12, 1, v8
	;; [unrolled: 1-line block ×3, first 2 shown]
	v_lshrrev_b32_e32 v7, 16, v2
	v_lshlrev_b16 v4, 1, v4
	s_wait_dscnt 0x0
	v_sub_nc_u16 v5, v11, v5
	v_sub_nc_u16 v1, v12, v1
	;; [unrolled: 1-line block ×3, first 2 shown]
	v_lshlrev_b16 v11, 1, v2
	v_lshlrev_b16 v12, 1, v6
	;; [unrolled: 1-line block ×4, first 2 shown]
	v_sub_nc_u16 v4, v4, v7
	v_sub_nc_u16 v6, v11, v6
	v_sub_nc_u16 v9, v12, v9
	v_sub_nc_u16 v2, v13, v2
	v_sub_nc_u16 v10, v14, v10
	v_and_b32_e32 v5, 0xff, v5
	v_lshlrev_b16 v1, 8, v1
	v_and_b32_e32 v8, 0xff, v8
	v_lshlrev_b16 v7, 8, v9
	v_and_b32_e32 v6, 0xff, v6
	v_lshlrev_b16 v2, 8, v2
	v_and_b32_e32 v9, 0xff, v10
	v_lshlrev_b16 v4, 8, v4
	v_or_b32_e32 v1, v5, v1
	v_or_b32_e32 v5, v8, v7
	;; [unrolled: 1-line block ×3, first 2 shown]
	s_add_co_i32 s0, s0, -1
	v_or_b32_e32 v4, v9, v4
	v_and_b32_e32 v1, 0xffff, v1
	v_lshlrev_b32_e32 v5, 16, v5
	v_and_b32_e32 v2, 0xffff, v2
	s_cmp_lg_u32 s0, 0
	v_lshlrev_b32_e32 v4, 16, v4
	s_wait_loadcnt 0x0
	v_or_b32_e32 v1, v1, v5
	s_barrier_signal -1
	s_barrier_wait -1
	v_or_b32_e32 v2, v2, v4
	global_inv scope:SCOPE_SE
	s_cbranch_scc0 .LBB45_5
.LBB45_3:                               ; =>This Inner Loop Header: Depth=1
	v_lshrrev_b32_e32 v4, 24, v2
	v_mov_b32_e32 v5, 0x7b
	ds_store_b8 v0, v4
	s_wait_dscnt 0x0
	s_barrier_signal -1
	s_barrier_wait -1
	global_inv scope:SCOPE_SE
	s_and_saveexec_b32 s1, vcc_lo
	s_cbranch_execz .LBB45_2
; %bb.4:                                ;   in Loop: Header=BB45_3 Depth=1
	ds_load_u8 v5, v3
	s_branch .LBB45_2
.LBB45_5:
	s_add_nc_u64 s[0:1], s[6:7], s[2:3]
	s_delay_alu instid0(VALU_DEP_2)
	v_lshrrev_b32_e32 v5, 24, v1
	v_add_co_u32 v3, s0, s0, v0
	s_wait_alu 0xf1ff
	v_add_co_ci_u32_e64 v4, null, s1, 0, s0
	v_lshrrev_b32_e32 v0, 8, v1
	v_lshrrev_b32_e32 v6, 8, v2
	;; [unrolled: 1-line block ×3, first 2 shown]
	s_clause 0x7
	global_store_b8 v[3:4], v1, off
	global_store_b8 v[3:4], v0, off offset:256
	global_store_d16_hi_b8 v[3:4], v1, off offset:512
	global_store_b8 v[3:4], v5, off offset:768
	global_store_b8 v[3:4], v2, off offset:1024
	;; [unrolled: 1-line block ×3, first 2 shown]
	global_store_d16_hi_b8 v[3:4], v2, off offset:1536
	global_store_b8 v[3:4], v7, off offset:1792
	s_endpgm
	.section	.rodata,"a",@progbits
	.p2align	6, 0x0
	.amdhsa_kernel _Z6kernelI13subtract_leftLj256ELj8ELb1EJPaS1_jEEvDpT3_
		.amdhsa_group_segment_fixed_size 512
		.amdhsa_private_segment_fixed_size 0
		.amdhsa_kernarg_size 20
		.amdhsa_user_sgpr_count 2
		.amdhsa_user_sgpr_dispatch_ptr 0
		.amdhsa_user_sgpr_queue_ptr 0
		.amdhsa_user_sgpr_kernarg_segment_ptr 1
		.amdhsa_user_sgpr_dispatch_id 0
		.amdhsa_user_sgpr_private_segment_size 0
		.amdhsa_wavefront_size32 1
		.amdhsa_uses_dynamic_stack 0
		.amdhsa_enable_private_segment 0
		.amdhsa_system_sgpr_workgroup_id_x 1
		.amdhsa_system_sgpr_workgroup_id_y 0
		.amdhsa_system_sgpr_workgroup_id_z 0
		.amdhsa_system_sgpr_workgroup_info 0
		.amdhsa_system_vgpr_workitem_id 0
		.amdhsa_next_free_vgpr 15
		.amdhsa_next_free_sgpr 8
		.amdhsa_reserve_vcc 1
		.amdhsa_float_round_mode_32 0
		.amdhsa_float_round_mode_16_64 0
		.amdhsa_float_denorm_mode_32 3
		.amdhsa_float_denorm_mode_16_64 3
		.amdhsa_fp16_overflow 0
		.amdhsa_workgroup_processor_mode 1
		.amdhsa_memory_ordered 1
		.amdhsa_forward_progress 1
		.amdhsa_inst_pref_size 6
		.amdhsa_round_robin_scheduling 0
		.amdhsa_exception_fp_ieee_invalid_op 0
		.amdhsa_exception_fp_denorm_src 0
		.amdhsa_exception_fp_ieee_div_zero 0
		.amdhsa_exception_fp_ieee_overflow 0
		.amdhsa_exception_fp_ieee_underflow 0
		.amdhsa_exception_fp_ieee_inexact 0
		.amdhsa_exception_int_div_zero 0
	.end_amdhsa_kernel
	.section	.text._Z6kernelI13subtract_leftLj256ELj8ELb1EJPaS1_jEEvDpT3_,"axG",@progbits,_Z6kernelI13subtract_leftLj256ELj8ELb1EJPaS1_jEEvDpT3_,comdat
.Lfunc_end45:
	.size	_Z6kernelI13subtract_leftLj256ELj8ELb1EJPaS1_jEEvDpT3_, .Lfunc_end45-_Z6kernelI13subtract_leftLj256ELj8ELb1EJPaS1_jEEvDpT3_
                                        ; -- End function
	.set _Z6kernelI13subtract_leftLj256ELj8ELb1EJPaS1_jEEvDpT3_.num_vgpr, 15
	.set _Z6kernelI13subtract_leftLj256ELj8ELb1EJPaS1_jEEvDpT3_.num_agpr, 0
	.set _Z6kernelI13subtract_leftLj256ELj8ELb1EJPaS1_jEEvDpT3_.numbered_sgpr, 8
	.set _Z6kernelI13subtract_leftLj256ELj8ELb1EJPaS1_jEEvDpT3_.num_named_barrier, 0
	.set _Z6kernelI13subtract_leftLj256ELj8ELb1EJPaS1_jEEvDpT3_.private_seg_size, 0
	.set _Z6kernelI13subtract_leftLj256ELj8ELb1EJPaS1_jEEvDpT3_.uses_vcc, 1
	.set _Z6kernelI13subtract_leftLj256ELj8ELb1EJPaS1_jEEvDpT3_.uses_flat_scratch, 0
	.set _Z6kernelI13subtract_leftLj256ELj8ELb1EJPaS1_jEEvDpT3_.has_dyn_sized_stack, 0
	.set _Z6kernelI13subtract_leftLj256ELj8ELb1EJPaS1_jEEvDpT3_.has_recursion, 0
	.set _Z6kernelI13subtract_leftLj256ELj8ELb1EJPaS1_jEEvDpT3_.has_indirect_call, 0
	.section	.AMDGPU.csdata,"",@progbits
; Kernel info:
; codeLenInByte = 756
; TotalNumSgprs: 10
; NumVgprs: 15
; ScratchSize: 0
; MemoryBound: 0
; FloatMode: 240
; IeeeMode: 1
; LDSByteSize: 512 bytes/workgroup (compile time only)
; SGPRBlocks: 0
; VGPRBlocks: 1
; NumSGPRsForWavesPerEU: 10
; NumVGPRsForWavesPerEU: 15
; Occupancy: 16
; WaveLimiterHint : 1
; COMPUTE_PGM_RSRC2:SCRATCH_EN: 0
; COMPUTE_PGM_RSRC2:USER_SGPR: 2
; COMPUTE_PGM_RSRC2:TRAP_HANDLER: 0
; COMPUTE_PGM_RSRC2:TGID_X_EN: 1
; COMPUTE_PGM_RSRC2:TGID_Y_EN: 0
; COMPUTE_PGM_RSRC2:TGID_Z_EN: 0
; COMPUTE_PGM_RSRC2:TIDIG_COMP_CNT: 0
	.section	.text._Z6kernelI13subtract_leftLj256ELj16ELb1EJPaS1_jEEvDpT3_,"axG",@progbits,_Z6kernelI13subtract_leftLj256ELj16ELb1EJPaS1_jEEvDpT3_,comdat
	.protected	_Z6kernelI13subtract_leftLj256ELj16ELb1EJPaS1_jEEvDpT3_ ; -- Begin function _Z6kernelI13subtract_leftLj256ELj16ELb1EJPaS1_jEEvDpT3_
	.globl	_Z6kernelI13subtract_leftLj256ELj16ELb1EJPaS1_jEEvDpT3_
	.p2align	8
	.type	_Z6kernelI13subtract_leftLj256ELj16ELb1EJPaS1_jEEvDpT3_,@function
_Z6kernelI13subtract_leftLj256ELj16ELb1EJPaS1_jEEvDpT3_: ; @_Z6kernelI13subtract_leftLj256ELj16ELb1EJPaS1_jEEvDpT3_
; %bb.0:
	s_load_b128 s[4:7], s[0:1], 0x0
	s_lshl_b32 s2, ttmp9, 12
	s_mov_b32 s3, 0
	s_load_b32 s0, s[0:1], 0x10
	s_wait_kmcnt 0x0
	s_add_nc_u64 s[4:5], s[4:5], s[2:3]
	s_clause 0xf
	global_load_u8 v1, v0, s[4:5] offset:256
	global_load_u8 v2, v0, s[4:5] offset:768
	;; [unrolled: 1-line block ×7, first 2 shown]
	global_load_u8 v8, v0, s[4:5]
	global_load_u8 v9, v0, s[4:5] offset:2304
	global_load_u8 v10, v0, s[4:5] offset:3584
	global_load_u8 v11, v0, s[4:5] offset:3072
	global_load_u8 v12, v0, s[4:5] offset:2560
	global_load_u8 v13, v0, s[4:5] offset:2048
	global_load_u8 v14, v0, s[4:5] offset:2816
	global_load_u8 v15, v0, s[4:5] offset:3328
	global_load_u8 v16, v0, s[4:5] offset:3840
	s_cmp_eq_u32 s0, 0
	s_wait_loadcnt 0xb
	v_perm_b32 v4, v5, v4, 0xc0c0004
	s_wait_loadcnt 0xa
	v_perm_b32 v6, v6, v3, 0xc0c0004
	;; [unrolled: 2-line block ×4, first 2 shown]
	v_lshl_or_b32 v4, v4, 16, v6
	s_wait_loadcnt 0x3
	v_perm_b32 v5, v13, v9, 0xc0c0004
	s_wait_loadcnt 0x2
	v_perm_b32 v7, v12, v14, 0xc0c0004
	;; [unrolled: 2-line block ×4, first 2 shown]
	v_lshl_or_b32 v3, v2, 16, v1
	v_lshl_or_b32 v1, v7, 16, v5
	s_delay_alu instid0(VALU_DEP_3)
	v_lshl_or_b32 v2, v9, 16, v8
	s_cbranch_scc1 .LBB46_5
; %bb.1:
	v_add_nc_u32_e32 v5, -1, v0
	v_cmp_ne_u32_e32 vcc_lo, 0, v0
	s_branch .LBB46_3
.LBB46_2:                               ;   in Loop: Header=BB46_3 Depth=1
	s_or_b32 exec_lo, exec_lo, s1
	v_lshrrev_b64 v[8:9], 24, v[3:4]
	v_lshrrev_b32_e32 v15, 8, v3
	v_lshrrev_b32_e32 v12, 8, v4
	v_lshlrev_b16 v14, 1, v3
	v_lshrrev_b32_e32 v16, 16, v3
	v_lshlrev_b16 v20, 1, v4
	v_lshlrev_b16 v18, 1, v15
	;; [unrolled: 1-line block ×4, first 2 shown]
	s_wait_dscnt 0x0
	v_sub_nc_u16 v7, v14, v7
	v_lshlrev_b16 v19, 1, v16
	v_sub_nc_u16 v3, v18, v3
	v_sub_nc_u16 v16, v17, v16
	;; [unrolled: 1-line block ×4, first 2 shown]
	v_and_b32_e32 v7, 0xff, v7
	v_lshlrev_b16 v3, 8, v3
	v_lshrrev_b32_e32 v13, 16, v4
	v_sub_nc_u16 v15, v19, v15
	v_and_b32_e32 v8, 0xff, v8
	v_lshlrev_b16 v17, 8, v17
	v_lshrrev_b32_e32 v18, 24, v4
	v_or_b32_e32 v7, v7, v3
	v_lshrrev_b64 v[3:4], 24, v[1:2]
	v_lshrrev_b32_e32 v9, 16, v1
	v_lshrrev_b32_e32 v14, 8, v1
	v_and_b32_e32 v15, 0xff, v15
	v_lshlrev_b16 v16, 8, v16
	v_or_b32_e32 v4, v8, v17
	v_lshlrev_b16 v8, 1, v13
	v_lshrrev_b32_e32 v10, 8, v2
	v_lshrrev_b32_e32 v11, 16, v2
	v_or_b32_e32 v15, v15, v16
	v_lshlrev_b16 v16, 1, v18
	v_sub_nc_u16 v8, v8, v12
	v_lshlrev_b16 v12, 1, v1
	v_lshlrev_b16 v17, 1, v14
	;; [unrolled: 1-line block ×3, first 2 shown]
	v_sub_nc_u16 v13, v16, v13
	v_lshlrev_b16 v16, 1, v3
	v_sub_nc_u16 v12, v12, v18
	v_sub_nc_u16 v1, v17, v1
	;; [unrolled: 1-line block ×3, first 2 shown]
	v_lshlrev_b16 v17, 1, v2
	v_lshlrev_b16 v18, 1, v10
	;; [unrolled: 1-line block ×4, first 2 shown]
	v_sub_nc_u16 v9, v16, v9
	v_sub_nc_u16 v3, v17, v3
	;; [unrolled: 1-line block ×5, first 2 shown]
	v_and_b32_e32 v8, 0xff, v8
	v_lshlrev_b16 v13, 8, v13
	v_and_b32_e32 v12, 0xff, v12
	v_lshlrev_b16 v1, 8, v1
	;; [unrolled: 2-line block ×5, first 2 shown]
	v_or_b32_e32 v8, v8, v13
	v_or_b32_e32 v1, v12, v1
	;; [unrolled: 1-line block ×5, first 2 shown]
	v_and_b32_e32 v7, 0xffff, v7
	v_lshlrev_b32_e32 v15, 16, v15
	v_and_b32_e32 v4, 0xffff, v4
	v_lshlrev_b32_e32 v6, 16, v8
	;; [unrolled: 2-line block ×4, first 2 shown]
	v_or_b32_e32 v3, v7, v15
	v_or_b32_e32 v4, v4, v6
	;; [unrolled: 1-line block ×3, first 2 shown]
	s_add_co_i32 s0, s0, -1
	v_or_b32_e32 v2, v2, v9
	s_cmp_lg_u32 s0, 0
	s_wait_loadcnt 0x0
	s_barrier_signal -1
	s_barrier_wait -1
	global_inv scope:SCOPE_SE
	s_cbranch_scc0 .LBB46_5
.LBB46_3:                               ; =>This Inner Loop Header: Depth=1
	v_lshrrev_b32_e32 v6, 24, v2
	v_mov_b32_e32 v7, 0x7b
	ds_store_b8 v0, v6
	s_wait_dscnt 0x0
	s_barrier_signal -1
	s_barrier_wait -1
	global_inv scope:SCOPE_SE
	s_and_saveexec_b32 s1, vcc_lo
	s_cbranch_execz .LBB46_2
; %bb.4:                                ;   in Loop: Header=BB46_3 Depth=1
	ds_load_u8 v7, v5
	s_branch .LBB46_2
.LBB46_5:
	s_add_nc_u64 s[0:1], s[6:7], s[2:3]
	v_lshrrev_b32_e32 v7, 24, v3
	v_add_co_u32 v5, s0, s0, v0
	s_wait_alu 0xf1ff
	v_add_co_ci_u32_e64 v6, null, s1, 0, s0
	v_lshrrev_b32_e32 v0, 8, v3
	v_lshrrev_b32_e32 v8, 8, v4
	;; [unrolled: 1-line block ×3, first 2 shown]
	s_clause 0x7
	global_store_b8 v[5:6], v3, off
	global_store_b8 v[5:6], v0, off offset:256
	global_store_d16_hi_b8 v[5:6], v3, off offset:512
	global_store_b8 v[5:6], v7, off offset:768
	global_store_b8 v[5:6], v4, off offset:1024
	;; [unrolled: 1-line block ×3, first 2 shown]
	global_store_d16_hi_b8 v[5:6], v4, off offset:1536
	global_store_b8 v[5:6], v9, off offset:1792
	v_lshrrev_b32_e32 v0, 8, v1
	v_lshrrev_b32_e32 v3, 24, v1
	;; [unrolled: 1-line block ×4, first 2 shown]
	s_clause 0x7
	global_store_b8 v[5:6], v1, off offset:2048
	global_store_b8 v[5:6], v0, off offset:2304
	global_store_d16_hi_b8 v[5:6], v1, off offset:2560
	global_store_b8 v[5:6], v3, off offset:2816
	global_store_b8 v[5:6], v2, off offset:3072
	;; [unrolled: 1-line block ×3, first 2 shown]
	global_store_d16_hi_b8 v[5:6], v2, off offset:3584
	global_store_b8 v[5:6], v7, off offset:3840
	s_endpgm
	.section	.rodata,"a",@progbits
	.p2align	6, 0x0
	.amdhsa_kernel _Z6kernelI13subtract_leftLj256ELj16ELb1EJPaS1_jEEvDpT3_
		.amdhsa_group_segment_fixed_size 512
		.amdhsa_private_segment_fixed_size 0
		.amdhsa_kernarg_size 20
		.amdhsa_user_sgpr_count 2
		.amdhsa_user_sgpr_dispatch_ptr 0
		.amdhsa_user_sgpr_queue_ptr 0
		.amdhsa_user_sgpr_kernarg_segment_ptr 1
		.amdhsa_user_sgpr_dispatch_id 0
		.amdhsa_user_sgpr_private_segment_size 0
		.amdhsa_wavefront_size32 1
		.amdhsa_uses_dynamic_stack 0
		.amdhsa_enable_private_segment 0
		.amdhsa_system_sgpr_workgroup_id_x 1
		.amdhsa_system_sgpr_workgroup_id_y 0
		.amdhsa_system_sgpr_workgroup_id_z 0
		.amdhsa_system_sgpr_workgroup_info 0
		.amdhsa_system_vgpr_workitem_id 0
		.amdhsa_next_free_vgpr 22
		.amdhsa_next_free_sgpr 8
		.amdhsa_reserve_vcc 1
		.amdhsa_float_round_mode_32 0
		.amdhsa_float_round_mode_16_64 0
		.amdhsa_float_denorm_mode_32 3
		.amdhsa_float_denorm_mode_16_64 3
		.amdhsa_fp16_overflow 0
		.amdhsa_workgroup_processor_mode 1
		.amdhsa_memory_ordered 1
		.amdhsa_forward_progress 1
		.amdhsa_inst_pref_size 11
		.amdhsa_round_robin_scheduling 0
		.amdhsa_exception_fp_ieee_invalid_op 0
		.amdhsa_exception_fp_denorm_src 0
		.amdhsa_exception_fp_ieee_div_zero 0
		.amdhsa_exception_fp_ieee_overflow 0
		.amdhsa_exception_fp_ieee_underflow 0
		.amdhsa_exception_fp_ieee_inexact 0
		.amdhsa_exception_int_div_zero 0
	.end_amdhsa_kernel
	.section	.text._Z6kernelI13subtract_leftLj256ELj16ELb1EJPaS1_jEEvDpT3_,"axG",@progbits,_Z6kernelI13subtract_leftLj256ELj16ELb1EJPaS1_jEEvDpT3_,comdat
.Lfunc_end46:
	.size	_Z6kernelI13subtract_leftLj256ELj16ELb1EJPaS1_jEEvDpT3_, .Lfunc_end46-_Z6kernelI13subtract_leftLj256ELj16ELb1EJPaS1_jEEvDpT3_
                                        ; -- End function
	.set _Z6kernelI13subtract_leftLj256ELj16ELb1EJPaS1_jEEvDpT3_.num_vgpr, 22
	.set _Z6kernelI13subtract_leftLj256ELj16ELb1EJPaS1_jEEvDpT3_.num_agpr, 0
	.set _Z6kernelI13subtract_leftLj256ELj16ELb1EJPaS1_jEEvDpT3_.numbered_sgpr, 8
	.set _Z6kernelI13subtract_leftLj256ELj16ELb1EJPaS1_jEEvDpT3_.num_named_barrier, 0
	.set _Z6kernelI13subtract_leftLj256ELj16ELb1EJPaS1_jEEvDpT3_.private_seg_size, 0
	.set _Z6kernelI13subtract_leftLj256ELj16ELb1EJPaS1_jEEvDpT3_.uses_vcc, 1
	.set _Z6kernelI13subtract_leftLj256ELj16ELb1EJPaS1_jEEvDpT3_.uses_flat_scratch, 0
	.set _Z6kernelI13subtract_leftLj256ELj16ELb1EJPaS1_jEEvDpT3_.has_dyn_sized_stack, 0
	.set _Z6kernelI13subtract_leftLj256ELj16ELb1EJPaS1_jEEvDpT3_.has_recursion, 0
	.set _Z6kernelI13subtract_leftLj256ELj16ELb1EJPaS1_jEEvDpT3_.has_indirect_call, 0
	.section	.AMDGPU.csdata,"",@progbits
; Kernel info:
; codeLenInByte = 1312
; TotalNumSgprs: 10
; NumVgprs: 22
; ScratchSize: 0
; MemoryBound: 0
; FloatMode: 240
; IeeeMode: 1
; LDSByteSize: 512 bytes/workgroup (compile time only)
; SGPRBlocks: 0
; VGPRBlocks: 2
; NumSGPRsForWavesPerEU: 10
; NumVGPRsForWavesPerEU: 22
; Occupancy: 16
; WaveLimiterHint : 1
; COMPUTE_PGM_RSRC2:SCRATCH_EN: 0
; COMPUTE_PGM_RSRC2:USER_SGPR: 2
; COMPUTE_PGM_RSRC2:TRAP_HANDLER: 0
; COMPUTE_PGM_RSRC2:TGID_X_EN: 1
; COMPUTE_PGM_RSRC2:TGID_Y_EN: 0
; COMPUTE_PGM_RSRC2:TGID_Z_EN: 0
; COMPUTE_PGM_RSRC2:TIDIG_COMP_CNT: 0
	.section	.text._Z6kernelI13subtract_leftLj256ELj32ELb1EJPaS1_jEEvDpT3_,"axG",@progbits,_Z6kernelI13subtract_leftLj256ELj32ELb1EJPaS1_jEEvDpT3_,comdat
	.protected	_Z6kernelI13subtract_leftLj256ELj32ELb1EJPaS1_jEEvDpT3_ ; -- Begin function _Z6kernelI13subtract_leftLj256ELj32ELb1EJPaS1_jEEvDpT3_
	.globl	_Z6kernelI13subtract_leftLj256ELj32ELb1EJPaS1_jEEvDpT3_
	.p2align	8
	.type	_Z6kernelI13subtract_leftLj256ELj32ELb1EJPaS1_jEEvDpT3_,@function
_Z6kernelI13subtract_leftLj256ELj32ELb1EJPaS1_jEEvDpT3_: ; @_Z6kernelI13subtract_leftLj256ELj32ELb1EJPaS1_jEEvDpT3_
; %bb.0:
	s_load_b128 s[4:7], s[0:1], 0x0
	s_lshl_b32 s2, ttmp9, 13
	s_mov_b32 s3, 0
	s_load_b32 s0, s[0:1], 0x10
	s_wait_kmcnt 0x0
	s_add_nc_u64 s[4:5], s[4:5], s[2:3]
	s_clause 0x1f
	global_load_u8 v1, v0, s[4:5] offset:256
	global_load_u8 v2, v0, s[4:5] offset:768
	;; [unrolled: 1-line block ×7, first 2 shown]
	global_load_u8 v8, v0, s[4:5]
	global_load_u8 v9, v0, s[4:5] offset:2304
	global_load_u8 v10, v0, s[4:5] offset:2816
	;; [unrolled: 1-line block ×24, first 2 shown]
	s_cmp_eq_u32 s0, 0
	s_wait_loadcnt 0x1b
	v_perm_b32 v4, v5, v4, 0xc0c0004
	s_wait_loadcnt 0x1a
	v_perm_b32 v3, v6, v3, 0xc0c0004
	;; [unrolled: 2-line block ×4, first 2 shown]
	v_lshl_or_b32 v8, v4, 16, v3
	s_delay_alu instid0(VALU_DEP_2)
	v_lshl_or_b32 v7, v2, 16, v1
	s_wait_loadcnt 0x11
	v_perm_b32 v6, v15, v10, 0xc0c0004
	s_wait_loadcnt 0x10
	v_perm_b32 v5, v16, v9, 0xc0c0004
	v_perm_b32 v9, v14, v11, 0xc0c0004
	;; [unrolled: 1-line block ×3, first 2 shown]
	s_wait_loadcnt 0xb
	v_perm_b32 v14, v21, v20, 0xc0c0004
	s_wait_loadcnt 0xa
	v_perm_b32 v13, v22, v19, 0xc0c0004
	;; [unrolled: 2-line block ×4, first 2 shown]
	v_lshl_or_b32 v5, v6, 16, v5
	v_lshl_or_b32 v6, v10, 16, v9
	;; [unrolled: 1-line block ×3, first 2 shown]
	s_wait_loadcnt 0x3
	v_perm_b32 v15, v29, v25, 0xc0c0004
	s_wait_loadcnt 0x2
	v_perm_b32 v16, v28, v30, 0xc0c0004
	;; [unrolled: 2-line block ×4, first 2 shown]
	v_lshl_or_b32 v3, v12, 16, v11
	v_lshl_or_b32 v1, v16, 16, v15
	s_delay_alu instid0(VALU_DEP_3)
	v_lshl_or_b32 v2, v18, 16, v17
	s_cbranch_scc1 .LBB47_5
; %bb.1:
	v_add_nc_u32_e32 v9, -1, v0
	v_cmp_ne_u32_e32 vcc_lo, 0, v0
	s_branch .LBB47_3
.LBB47_2:                               ;   in Loop: Header=BB47_3 Depth=1
	s_or_b32 exec_lo, exec_lo, s1
	v_lshrrev_b64 v[12:13], 24, v[7:8]
	v_lshrrev_b32_e32 v14, 16, v7
	v_lshrrev_b32_e32 v15, 8, v7
	v_lshlrev_b16 v13, 1, v7
	v_lshrrev_b32_e32 v19, 8, v8
	v_lshrrev_b32_e32 v20, 16, v8
	v_lshlrev_b16 v29, 1, v14
	v_lshlrev_b16 v16, 1, v15
	v_lshlrev_b16 v30, 1, v12
	s_wait_dscnt 0x0
	v_sub_nc_u16 v11, v13, v11
	v_lshrrev_b32_e32 v33, 24, v8
	v_sub_nc_u16 v13, v29, v15
	v_sub_nc_u16 v7, v16, v7
	;; [unrolled: 1-line block ×3, first 2 shown]
	v_and_b32_e32 v11, 0xff, v11
	v_lshlrev_b16 v34, 1, v8
	v_and_b32_e32 v13, 0xff, v13
	v_lshlrev_b16 v7, 8, v7
	v_lshlrev_b16 v14, 8, v14
	v_lshrrev_b32_e32 v30, 16, v5
	v_sub_nc_u16 v12, v34, v12
	v_lshlrev_b16 v34, 1, v20
	v_or_b32_e32 v7, v11, v7
	v_or_b32_e32 v11, v13, v14
	v_lshrrev_b64 v[13:14], 24, v[1:2]
	v_lshrrev_b64 v[14:15], 24, v[3:4]
	;; [unrolled: 1-line block ×3, first 2 shown]
	v_and_b32_e32 v7, 0xffff, v7
	v_lshlrev_b32_e32 v11, 16, v11
	v_lshlrev_b16 v16, 1, v19
	v_lshrrev_b32_e32 v32, 8, v5
	v_and_b32_e32 v12, 0xff, v12
	v_lshrrev_b32_e32 v21, 8, v6
	v_or_b32_e32 v7, v7, v11
	v_lshlrev_b16 v11, 1, v33
	v_sub_nc_u16 v8, v16, v8
	v_sub_nc_u16 v16, v34, v19
	v_lshlrev_b16 v19, 1, v5
	v_lshlrev_b16 v34, 1, v32
	v_sub_nc_u16 v11, v11, v20
	v_lshlrev_b16 v8, 8, v8
	v_and_b32_e32 v16, 0xff, v16
	v_sub_nc_u16 v19, v19, v33
	v_lshlrev_b16 v20, 1, v15
	v_lshlrev_b16 v11, 8, v11
	;; [unrolled: 1-line block ×3, first 2 shown]
	v_sub_nc_u16 v5, v34, v5
	v_or_b32_e32 v8, v12, v8
	v_lshrrev_b32_e32 v22, 16, v6
	v_or_b32_e32 v11, v16, v11
	v_sub_nc_u16 v12, v33, v32
	v_sub_nc_u16 v16, v20, v30
	v_lshrrev_b32_e32 v29, 24, v6
	v_and_b32_e32 v19, 0xff, v19
	v_lshlrev_b16 v5, 8, v5
	v_and_b32_e32 v12, 0xff, v12
	v_lshlrev_b16 v16, 8, v16
	v_lshlrev_b16 v20, 1, v21
	;; [unrolled: 1-line block ×3, first 2 shown]
	v_or_b32_e32 v5, v19, v5
	v_lshlrev_b16 v19, 1, v6
	v_or_b32_e32 v12, v12, v16
	v_lshlrev_b16 v16, 1, v29
	v_lshrrev_b32_e32 v23, 8, v4
	v_and_b32_e32 v8, 0xffff, v8
	v_lshlrev_b32_e32 v11, 16, v11
	v_sub_nc_u16 v15, v19, v15
	v_sub_nc_u16 v6, v20, v6
	;; [unrolled: 1-line block ×4, first 2 shown]
	v_lshlrev_b16 v20, 1, v3
	v_lshrrev_b32_e32 v28, 16, v3
	v_lshrrev_b32_e32 v31, 8, v3
	v_and_b32_e32 v5, 0xffff, v5
	v_lshlrev_b32_e32 v12, 16, v12
	v_and_b32_e32 v15, 0xff, v15
	v_lshlrev_b16 v6, 8, v6
	v_and_b32_e32 v19, 0xff, v19
	v_lshlrev_b16 v16, 8, v16
	v_or_b32_e32 v8, v8, v11
	v_sub_nc_u16 v11, v20, v29
	v_lshlrev_b16 v20, 1, v4
	v_lshlrev_b16 v21, 1, v23
	v_lshrrev_b32_e32 v24, 16, v4
	v_lshrrev_b32_e32 v27, 24, v4
	v_or_b32_e32 v5, v5, v12
	v_or_b32_e32 v6, v15, v6
	;; [unrolled: 1-line block ×3, first 2 shown]
	v_lshlrev_b16 v15, 1, v14
	v_lshlrev_b16 v16, 1, v31
	;; [unrolled: 1-line block ×3, first 2 shown]
	v_sub_nc_u16 v14, v20, v14
	v_sub_nc_u16 v4, v21, v4
	v_lshrrev_b32_e32 v25, 16, v1
	v_lshrrev_b32_e32 v26, 8, v1
	v_sub_nc_u16 v3, v16, v3
	v_sub_nc_u16 v16, v19, v31
	;; [unrolled: 1-line block ×3, first 2 shown]
	v_and_b32_e32 v14, 0xff, v14
	v_lshlrev_b16 v4, 8, v4
	v_lshrrev_b32_e32 v17, 8, v2
	v_lshrrev_b32_e32 v18, 16, v2
	v_and_b32_e32 v11, 0xff, v11
	v_lshlrev_b16 v3, 8, v3
	v_and_b32_e32 v16, 0xff, v16
	v_lshlrev_b16 v15, 8, v15
	v_or_b32_e32 v4, v14, v4
	v_lshlrev_b16 v14, 1, v24
	v_lshlrev_b16 v19, 1, v26
	;; [unrolled: 1-line block ×3, first 2 shown]
	v_or_b32_e32 v3, v11, v3
	v_or_b32_e32 v11, v16, v15
	v_lshlrev_b16 v15, 1, v27
	v_sub_nc_u16 v14, v14, v23
	v_lshlrev_b16 v16, 1, v1
	v_sub_nc_u16 v1, v19, v1
	v_sub_nc_u16 v19, v20, v26
	v_lshlrev_b16 v20, 1, v13
	v_lshlrev_b16 v21, 1, v2
	;; [unrolled: 1-line block ×5, first 2 shown]
	v_sub_nc_u16 v15, v15, v24
	v_sub_nc_u16 v16, v16, v27
	;; [unrolled: 1-line block ×7, first 2 shown]
	v_and_b32_e32 v14, 0xff, v14
	v_lshlrev_b16 v15, 8, v15
	v_and_b32_e32 v16, 0xff, v16
	v_lshlrev_b16 v1, 8, v1
	;; [unrolled: 2-line block ×5, first 2 shown]
	v_or_b32_e32 v14, v14, v15
	v_or_b32_e32 v1, v16, v1
	;; [unrolled: 1-line block ×5, first 2 shown]
	v_and_b32_e32 v6, 0xffff, v6
	v_lshlrev_b32_e32 v12, 16, v12
	v_and_b32_e32 v3, 0xffff, v3
	v_lshlrev_b32_e32 v11, 16, v11
	;; [unrolled: 2-line block ×5, first 2 shown]
	v_or_b32_e32 v6, v6, v12
	v_or_b32_e32 v3, v3, v11
	;; [unrolled: 1-line block ×5, first 2 shown]
	s_add_co_i32 s0, s0, -1
	s_wait_loadcnt 0x0
	s_cmp_lg_u32 s0, 0
	s_barrier_signal -1
	s_barrier_wait -1
	global_inv scope:SCOPE_SE
	s_cbranch_scc0 .LBB47_5
.LBB47_3:                               ; =>This Inner Loop Header: Depth=1
	v_lshrrev_b32_e32 v10, 24, v2
	v_mov_b32_e32 v11, 0x7b
	ds_store_b8 v0, v10
	s_wait_dscnt 0x0
	s_barrier_signal -1
	s_barrier_wait -1
	global_inv scope:SCOPE_SE
	s_and_saveexec_b32 s1, vcc_lo
	s_cbranch_execz .LBB47_2
; %bb.4:                                ;   in Loop: Header=BB47_3 Depth=1
	ds_load_u8 v11, v9
	s_branch .LBB47_2
.LBB47_5:
	s_add_nc_u64 s[0:1], s[6:7], s[2:3]
	v_lshrrev_b32_e32 v11, 24, v7
	v_add_co_u32 v9, s0, s0, v0
	s_wait_alu 0xf1ff
	v_add_co_ci_u32_e64 v10, null, s1, 0, s0
	v_lshrrev_b32_e32 v0, 8, v7
	v_lshrrev_b32_e32 v12, 8, v8
	;; [unrolled: 1-line block ×3, first 2 shown]
	s_clause 0x7
	global_store_b8 v[9:10], v7, off
	global_store_b8 v[9:10], v0, off offset:256
	global_store_d16_hi_b8 v[9:10], v7, off offset:512
	global_store_b8 v[9:10], v11, off offset:768
	global_store_b8 v[9:10], v8, off offset:1024
	global_store_b8 v[9:10], v12, off offset:1280
	global_store_d16_hi_b8 v[9:10], v8, off offset:1536
	global_store_b8 v[9:10], v13, off offset:1792
	v_lshrrev_b32_e32 v0, 8, v5
	v_lshrrev_b32_e32 v7, 24, v5
	v_lshrrev_b32_e32 v8, 8, v6
	v_lshrrev_b32_e32 v11, 24, v6
	s_clause 0x7
	global_store_b8 v[9:10], v5, off offset:2048
	global_store_b8 v[9:10], v0, off offset:2304
	global_store_d16_hi_b8 v[9:10], v5, off offset:2560
	global_store_b8 v[9:10], v7, off offset:2816
	global_store_b8 v[9:10], v6, off offset:3072
	global_store_b8 v[9:10], v8, off offset:3328
	global_store_d16_hi_b8 v[9:10], v6, off offset:3584
	global_store_b8 v[9:10], v11, off offset:3840
	v_lshrrev_b32_e32 v0, 8, v3
	v_lshrrev_b32_e32 v5, 24, v3
	v_lshrrev_b32_e32 v6, 8, v4
	v_lshrrev_b32_e32 v7, 24, v4
	s_clause 0x7
	global_store_b8 v[9:10], v3, off offset:4096
	;; [unrolled: 13-line block ×3, first 2 shown]
	global_store_b8 v[9:10], v0, off offset:6400
	global_store_d16_hi_b8 v[9:10], v1, off offset:6656
	global_store_b8 v[9:10], v3, off offset:6912
	global_store_b8 v[9:10], v2, off offset:7168
	;; [unrolled: 1-line block ×3, first 2 shown]
	global_store_d16_hi_b8 v[9:10], v2, off offset:7680
	global_store_b8 v[9:10], v5, off offset:7936
	s_endpgm
	.section	.rodata,"a",@progbits
	.p2align	6, 0x0
	.amdhsa_kernel _Z6kernelI13subtract_leftLj256ELj32ELb1EJPaS1_jEEvDpT3_
		.amdhsa_group_segment_fixed_size 512
		.amdhsa_private_segment_fixed_size 0
		.amdhsa_kernarg_size 20
		.amdhsa_user_sgpr_count 2
		.amdhsa_user_sgpr_dispatch_ptr 0
		.amdhsa_user_sgpr_queue_ptr 0
		.amdhsa_user_sgpr_kernarg_segment_ptr 1
		.amdhsa_user_sgpr_dispatch_id 0
		.amdhsa_user_sgpr_private_segment_size 0
		.amdhsa_wavefront_size32 1
		.amdhsa_uses_dynamic_stack 0
		.amdhsa_enable_private_segment 0
		.amdhsa_system_sgpr_workgroup_id_x 1
		.amdhsa_system_sgpr_workgroup_id_y 0
		.amdhsa_system_sgpr_workgroup_id_z 0
		.amdhsa_system_sgpr_workgroup_info 0
		.amdhsa_system_vgpr_workitem_id 0
		.amdhsa_next_free_vgpr 35
		.amdhsa_next_free_sgpr 8
		.amdhsa_reserve_vcc 1
		.amdhsa_float_round_mode_32 0
		.amdhsa_float_round_mode_16_64 0
		.amdhsa_float_denorm_mode_32 3
		.amdhsa_float_denorm_mode_16_64 3
		.amdhsa_fp16_overflow 0
		.amdhsa_workgroup_processor_mode 1
		.amdhsa_memory_ordered 1
		.amdhsa_forward_progress 1
		.amdhsa_inst_pref_size 19
		.amdhsa_round_robin_scheduling 0
		.amdhsa_exception_fp_ieee_invalid_op 0
		.amdhsa_exception_fp_denorm_src 0
		.amdhsa_exception_fp_ieee_div_zero 0
		.amdhsa_exception_fp_ieee_overflow 0
		.amdhsa_exception_fp_ieee_underflow 0
		.amdhsa_exception_fp_ieee_inexact 0
		.amdhsa_exception_int_div_zero 0
	.end_amdhsa_kernel
	.section	.text._Z6kernelI13subtract_leftLj256ELj32ELb1EJPaS1_jEEvDpT3_,"axG",@progbits,_Z6kernelI13subtract_leftLj256ELj32ELb1EJPaS1_jEEvDpT3_,comdat
.Lfunc_end47:
	.size	_Z6kernelI13subtract_leftLj256ELj32ELb1EJPaS1_jEEvDpT3_, .Lfunc_end47-_Z6kernelI13subtract_leftLj256ELj32ELb1EJPaS1_jEEvDpT3_
                                        ; -- End function
	.set _Z6kernelI13subtract_leftLj256ELj32ELb1EJPaS1_jEEvDpT3_.num_vgpr, 35
	.set _Z6kernelI13subtract_leftLj256ELj32ELb1EJPaS1_jEEvDpT3_.num_agpr, 0
	.set _Z6kernelI13subtract_leftLj256ELj32ELb1EJPaS1_jEEvDpT3_.numbered_sgpr, 8
	.set _Z6kernelI13subtract_leftLj256ELj32ELb1EJPaS1_jEEvDpT3_.num_named_barrier, 0
	.set _Z6kernelI13subtract_leftLj256ELj32ELb1EJPaS1_jEEvDpT3_.private_seg_size, 0
	.set _Z6kernelI13subtract_leftLj256ELj32ELb1EJPaS1_jEEvDpT3_.uses_vcc, 1
	.set _Z6kernelI13subtract_leftLj256ELj32ELb1EJPaS1_jEEvDpT3_.uses_flat_scratch, 0
	.set _Z6kernelI13subtract_leftLj256ELj32ELb1EJPaS1_jEEvDpT3_.has_dyn_sized_stack, 0
	.set _Z6kernelI13subtract_leftLj256ELj32ELb1EJPaS1_jEEvDpT3_.has_recursion, 0
	.set _Z6kernelI13subtract_leftLj256ELj32ELb1EJPaS1_jEEvDpT3_.has_indirect_call, 0
	.section	.AMDGPU.csdata,"",@progbits
; Kernel info:
; codeLenInByte = 2428
; TotalNumSgprs: 10
; NumVgprs: 35
; ScratchSize: 0
; MemoryBound: 0
; FloatMode: 240
; IeeeMode: 1
; LDSByteSize: 512 bytes/workgroup (compile time only)
; SGPRBlocks: 0
; VGPRBlocks: 4
; NumSGPRsForWavesPerEU: 10
; NumVGPRsForWavesPerEU: 35
; Occupancy: 16
; WaveLimiterHint : 1
; COMPUTE_PGM_RSRC2:SCRATCH_EN: 0
; COMPUTE_PGM_RSRC2:USER_SGPR: 2
; COMPUTE_PGM_RSRC2:TRAP_HANDLER: 0
; COMPUTE_PGM_RSRC2:TGID_X_EN: 1
; COMPUTE_PGM_RSRC2:TGID_Y_EN: 0
; COMPUTE_PGM_RSRC2:TGID_Z_EN: 0
; COMPUTE_PGM_RSRC2:TIDIG_COMP_CNT: 0
	.section	.text._Z6kernelI13subtract_leftLj256ELj1ELb1EJPxS1_jEEvDpT3_,"axG",@progbits,_Z6kernelI13subtract_leftLj256ELj1ELb1EJPxS1_jEEvDpT3_,comdat
	.protected	_Z6kernelI13subtract_leftLj256ELj1ELb1EJPxS1_jEEvDpT3_ ; -- Begin function _Z6kernelI13subtract_leftLj256ELj1ELb1EJPxS1_jEEvDpT3_
	.globl	_Z6kernelI13subtract_leftLj256ELj1ELb1EJPxS1_jEEvDpT3_
	.p2align	8
	.type	_Z6kernelI13subtract_leftLj256ELj1ELb1EJPxS1_jEEvDpT3_,@function
_Z6kernelI13subtract_leftLj256ELj1ELb1EJPxS1_jEEvDpT3_: ; @_Z6kernelI13subtract_leftLj256ELj1ELb1EJPxS1_jEEvDpT3_
; %bb.0:
	s_load_b128 s[4:7], s[0:1], 0x0
	s_lshl_b32 s2, ttmp9, 8
	s_mov_b32 s3, 0
	v_lshlrev_b32_e32 v5, 3, v0
	s_lshl_b64 s[2:3], s[2:3], 3
	s_load_b32 s1, s[0:1], 0x10
	s_wait_kmcnt 0x0
	s_add_nc_u64 s[4:5], s[4:5], s[2:3]
	global_load_b64 v[1:2], v5, s[4:5]
	s_cmp_eq_u32 s1, 0
	s_cbranch_scc1 .LBB48_5
; %bb.1:
	v_cmp_ne_u32_e32 vcc_lo, 0, v0
	v_add_nc_u32_e32 v0, -8, v5
	s_branch .LBB48_3
.LBB48_2:                               ;   in Loop: Header=BB48_3 Depth=1
	s_wait_alu 0xfffe
	s_or_b32 exec_lo, exec_lo, s0
	v_lshlrev_b64_e32 v[1:2], 1, v[1:2]
	s_add_co_i32 s1, s1, -1
	s_wait_loadcnt_dscnt 0x0
	s_wait_alu 0xfffe
	s_cmp_lg_u32 s1, 0
	s_barrier_signal -1
	s_barrier_wait -1
	v_sub_co_u32 v1, s0, v1, v3
	s_wait_alu 0xf1ff
	v_sub_co_ci_u32_e64 v2, null, v2, v4, s0
	global_inv scope:SCOPE_SE
	s_cbranch_scc0 .LBB48_5
.LBB48_3:                               ; =>This Inner Loop Header: Depth=1
	v_mov_b32_e32 v3, 0x7b
	v_mov_b32_e32 v4, 0
	s_wait_loadcnt 0x0
	ds_store_b64 v5, v[1:2]
	s_wait_dscnt 0x0
	s_barrier_signal -1
	s_barrier_wait -1
	global_inv scope:SCOPE_SE
	s_and_saveexec_b32 s0, vcc_lo
	s_cbranch_execz .LBB48_2
; %bb.4:                                ;   in Loop: Header=BB48_3 Depth=1
	ds_load_b64 v[3:4], v0
	s_branch .LBB48_2
.LBB48_5:
	s_add_nc_u64 s[0:1], s[6:7], s[2:3]
	s_wait_loadcnt 0x0
	global_store_b64 v5, v[1:2], s[0:1]
	s_endpgm
	.section	.rodata,"a",@progbits
	.p2align	6, 0x0
	.amdhsa_kernel _Z6kernelI13subtract_leftLj256ELj1ELb1EJPxS1_jEEvDpT3_
		.amdhsa_group_segment_fixed_size 4096
		.amdhsa_private_segment_fixed_size 0
		.amdhsa_kernarg_size 20
		.amdhsa_user_sgpr_count 2
		.amdhsa_user_sgpr_dispatch_ptr 0
		.amdhsa_user_sgpr_queue_ptr 0
		.amdhsa_user_sgpr_kernarg_segment_ptr 1
		.amdhsa_user_sgpr_dispatch_id 0
		.amdhsa_user_sgpr_private_segment_size 0
		.amdhsa_wavefront_size32 1
		.amdhsa_uses_dynamic_stack 0
		.amdhsa_enable_private_segment 0
		.amdhsa_system_sgpr_workgroup_id_x 1
		.amdhsa_system_sgpr_workgroup_id_y 0
		.amdhsa_system_sgpr_workgroup_id_z 0
		.amdhsa_system_sgpr_workgroup_info 0
		.amdhsa_system_vgpr_workitem_id 0
		.amdhsa_next_free_vgpr 6
		.amdhsa_next_free_sgpr 8
		.amdhsa_reserve_vcc 1
		.amdhsa_float_round_mode_32 0
		.amdhsa_float_round_mode_16_64 0
		.amdhsa_float_denorm_mode_32 3
		.amdhsa_float_denorm_mode_16_64 3
		.amdhsa_fp16_overflow 0
		.amdhsa_workgroup_processor_mode 1
		.amdhsa_memory_ordered 1
		.amdhsa_forward_progress 1
		.amdhsa_inst_pref_size 2
		.amdhsa_round_robin_scheduling 0
		.amdhsa_exception_fp_ieee_invalid_op 0
		.amdhsa_exception_fp_denorm_src 0
		.amdhsa_exception_fp_ieee_div_zero 0
		.amdhsa_exception_fp_ieee_overflow 0
		.amdhsa_exception_fp_ieee_underflow 0
		.amdhsa_exception_fp_ieee_inexact 0
		.amdhsa_exception_int_div_zero 0
	.end_amdhsa_kernel
	.section	.text._Z6kernelI13subtract_leftLj256ELj1ELb1EJPxS1_jEEvDpT3_,"axG",@progbits,_Z6kernelI13subtract_leftLj256ELj1ELb1EJPxS1_jEEvDpT3_,comdat
.Lfunc_end48:
	.size	_Z6kernelI13subtract_leftLj256ELj1ELb1EJPxS1_jEEvDpT3_, .Lfunc_end48-_Z6kernelI13subtract_leftLj256ELj1ELb1EJPxS1_jEEvDpT3_
                                        ; -- End function
	.set _Z6kernelI13subtract_leftLj256ELj1ELb1EJPxS1_jEEvDpT3_.num_vgpr, 6
	.set _Z6kernelI13subtract_leftLj256ELj1ELb1EJPxS1_jEEvDpT3_.num_agpr, 0
	.set _Z6kernelI13subtract_leftLj256ELj1ELb1EJPxS1_jEEvDpT3_.numbered_sgpr, 8
	.set _Z6kernelI13subtract_leftLj256ELj1ELb1EJPxS1_jEEvDpT3_.num_named_barrier, 0
	.set _Z6kernelI13subtract_leftLj256ELj1ELb1EJPxS1_jEEvDpT3_.private_seg_size, 0
	.set _Z6kernelI13subtract_leftLj256ELj1ELb1EJPxS1_jEEvDpT3_.uses_vcc, 1
	.set _Z6kernelI13subtract_leftLj256ELj1ELb1EJPxS1_jEEvDpT3_.uses_flat_scratch, 0
	.set _Z6kernelI13subtract_leftLj256ELj1ELb1EJPxS1_jEEvDpT3_.has_dyn_sized_stack, 0
	.set _Z6kernelI13subtract_leftLj256ELj1ELb1EJPxS1_jEEvDpT3_.has_recursion, 0
	.set _Z6kernelI13subtract_leftLj256ELj1ELb1EJPxS1_jEEvDpT3_.has_indirect_call, 0
	.section	.AMDGPU.csdata,"",@progbits
; Kernel info:
; codeLenInByte = 236
; TotalNumSgprs: 10
; NumVgprs: 6
; ScratchSize: 0
; MemoryBound: 0
; FloatMode: 240
; IeeeMode: 1
; LDSByteSize: 4096 bytes/workgroup (compile time only)
; SGPRBlocks: 0
; VGPRBlocks: 0
; NumSGPRsForWavesPerEU: 10
; NumVGPRsForWavesPerEU: 6
; Occupancy: 16
; WaveLimiterHint : 0
; COMPUTE_PGM_RSRC2:SCRATCH_EN: 0
; COMPUTE_PGM_RSRC2:USER_SGPR: 2
; COMPUTE_PGM_RSRC2:TRAP_HANDLER: 0
; COMPUTE_PGM_RSRC2:TGID_X_EN: 1
; COMPUTE_PGM_RSRC2:TGID_Y_EN: 0
; COMPUTE_PGM_RSRC2:TGID_Z_EN: 0
; COMPUTE_PGM_RSRC2:TIDIG_COMP_CNT: 0
	.section	.text._Z6kernelI13subtract_leftLj256ELj3ELb1EJPxS1_jEEvDpT3_,"axG",@progbits,_Z6kernelI13subtract_leftLj256ELj3ELb1EJPxS1_jEEvDpT3_,comdat
	.protected	_Z6kernelI13subtract_leftLj256ELj3ELb1EJPxS1_jEEvDpT3_ ; -- Begin function _Z6kernelI13subtract_leftLj256ELj3ELb1EJPxS1_jEEvDpT3_
	.globl	_Z6kernelI13subtract_leftLj256ELj3ELb1EJPxS1_jEEvDpT3_
	.p2align	8
	.type	_Z6kernelI13subtract_leftLj256ELj3ELb1EJPxS1_jEEvDpT3_,@function
_Z6kernelI13subtract_leftLj256ELj3ELb1EJPxS1_jEEvDpT3_: ; @_Z6kernelI13subtract_leftLj256ELj3ELb1EJPxS1_jEEvDpT3_
; %bb.0:
	s_load_b128 s[4:7], s[0:1], 0x0
	s_mul_i32 s2, ttmp9, 0x300
	s_mov_b32 s3, 0
	v_lshlrev_b32_e32 v11, 3, v0
	s_lshl_b64 s[2:3], s[2:3], 3
	s_load_b32 s1, s[0:1], 0x10
	s_wait_kmcnt 0x0
	s_add_nc_u64 s[4:5], s[4:5], s[2:3]
	s_clause 0x2
	global_load_b64 v[3:4], v11, s[4:5]
	global_load_b64 v[5:6], v11, s[4:5] offset:2048
	global_load_b64 v[1:2], v11, s[4:5] offset:4096
	s_cmp_eq_u32 s1, 0
	s_cbranch_scc1 .LBB49_6
; %bb.1:
	v_cmp_ne_u32_e32 vcc_lo, 0, v0
	v_add_nc_u32_e32 v0, -8, v11
.LBB49_2:                               ; =>This Inner Loop Header: Depth=1
	v_mov_b32_e32 v7, 0x7b
	v_mov_b32_e32 v8, 0
	s_wait_loadcnt 0x0
	ds_store_b64 v11, v[1:2]
	s_wait_dscnt 0x0
	s_barrier_signal -1
	s_barrier_wait -1
	global_inv scope:SCOPE_SE
	s_and_saveexec_b32 s0, vcc_lo
; %bb.3:                                ;   in Loop: Header=BB49_2 Depth=1
	ds_load_b64 v[7:8], v0
; %bb.4:                                ;   in Loop: Header=BB49_2 Depth=1
	s_wait_alu 0xfffe
	s_or_b32 exec_lo, exec_lo, s0
	v_lshlrev_b64_e32 v[9:10], 1, v[3:4]
	v_lshlrev_b64_e32 v[12:13], 1, v[5:6]
	;; [unrolled: 1-line block ×3, first 2 shown]
	s_add_co_i32 s1, s1, -1
	s_wait_loadcnt_dscnt 0x0
	s_wait_alu 0xfffe
	s_cmp_lg_u32 s1, 0
	v_sub_co_u32 v9, s0, v9, v7
	s_wait_alu 0xf1ff
	v_sub_co_ci_u32_e64 v10, null, v10, v8, s0
	v_sub_co_u32 v7, s0, v12, v3
	s_wait_alu 0xf1ff
	v_sub_co_ci_u32_e64 v8, null, v13, v4, s0
	;; [unrolled: 3-line block ×3, first 2 shown]
	s_barrier_signal -1
	s_barrier_wait -1
	global_inv scope:SCOPE_SE
	s_cbranch_scc0 .LBB49_7
; %bb.5:                                ;   in Loop: Header=BB49_2 Depth=1
	v_dual_mov_b32 v3, v9 :: v_dual_mov_b32 v4, v10
	v_dual_mov_b32 v5, v7 :: v_dual_mov_b32 v6, v8
	s_branch .LBB49_2
.LBB49_6:
	s_wait_loadcnt 0x1
	v_dual_mov_b32 v8, v6 :: v_dual_mov_b32 v7, v5
	v_dual_mov_b32 v10, v4 :: v_dual_mov_b32 v9, v3
.LBB49_7:
	s_add_nc_u64 s[0:1], s[6:7], s[2:3]
	s_clause 0x1
	global_store_b64 v11, v[9:10], s[0:1]
	global_store_b64 v11, v[7:8], s[0:1] offset:2048
	s_wait_loadcnt 0x0
	global_store_b64 v11, v[1:2], s[0:1] offset:4096
	s_endpgm
	.section	.rodata,"a",@progbits
	.p2align	6, 0x0
	.amdhsa_kernel _Z6kernelI13subtract_leftLj256ELj3ELb1EJPxS1_jEEvDpT3_
		.amdhsa_group_segment_fixed_size 4096
		.amdhsa_private_segment_fixed_size 0
		.amdhsa_kernarg_size 20
		.amdhsa_user_sgpr_count 2
		.amdhsa_user_sgpr_dispatch_ptr 0
		.amdhsa_user_sgpr_queue_ptr 0
		.amdhsa_user_sgpr_kernarg_segment_ptr 1
		.amdhsa_user_sgpr_dispatch_id 0
		.amdhsa_user_sgpr_private_segment_size 0
		.amdhsa_wavefront_size32 1
		.amdhsa_uses_dynamic_stack 0
		.amdhsa_enable_private_segment 0
		.amdhsa_system_sgpr_workgroup_id_x 1
		.amdhsa_system_sgpr_workgroup_id_y 0
		.amdhsa_system_sgpr_workgroup_id_z 0
		.amdhsa_system_sgpr_workgroup_info 0
		.amdhsa_system_vgpr_workitem_id 0
		.amdhsa_next_free_vgpr 14
		.amdhsa_next_free_sgpr 8
		.amdhsa_reserve_vcc 1
		.amdhsa_float_round_mode_32 0
		.amdhsa_float_round_mode_16_64 0
		.amdhsa_float_denorm_mode_32 3
		.amdhsa_float_denorm_mode_16_64 3
		.amdhsa_fp16_overflow 0
		.amdhsa_workgroup_processor_mode 1
		.amdhsa_memory_ordered 1
		.amdhsa_forward_progress 1
		.amdhsa_inst_pref_size 3
		.amdhsa_round_robin_scheduling 0
		.amdhsa_exception_fp_ieee_invalid_op 0
		.amdhsa_exception_fp_denorm_src 0
		.amdhsa_exception_fp_ieee_div_zero 0
		.amdhsa_exception_fp_ieee_overflow 0
		.amdhsa_exception_fp_ieee_underflow 0
		.amdhsa_exception_fp_ieee_inexact 0
		.amdhsa_exception_int_div_zero 0
	.end_amdhsa_kernel
	.section	.text._Z6kernelI13subtract_leftLj256ELj3ELb1EJPxS1_jEEvDpT3_,"axG",@progbits,_Z6kernelI13subtract_leftLj256ELj3ELb1EJPxS1_jEEvDpT3_,comdat
.Lfunc_end49:
	.size	_Z6kernelI13subtract_leftLj256ELj3ELb1EJPxS1_jEEvDpT3_, .Lfunc_end49-_Z6kernelI13subtract_leftLj256ELj3ELb1EJPxS1_jEEvDpT3_
                                        ; -- End function
	.set _Z6kernelI13subtract_leftLj256ELj3ELb1EJPxS1_jEEvDpT3_.num_vgpr, 14
	.set _Z6kernelI13subtract_leftLj256ELj3ELb1EJPxS1_jEEvDpT3_.num_agpr, 0
	.set _Z6kernelI13subtract_leftLj256ELj3ELb1EJPxS1_jEEvDpT3_.numbered_sgpr, 8
	.set _Z6kernelI13subtract_leftLj256ELj3ELb1EJPxS1_jEEvDpT3_.num_named_barrier, 0
	.set _Z6kernelI13subtract_leftLj256ELj3ELb1EJPxS1_jEEvDpT3_.private_seg_size, 0
	.set _Z6kernelI13subtract_leftLj256ELj3ELb1EJPxS1_jEEvDpT3_.uses_vcc, 1
	.set _Z6kernelI13subtract_leftLj256ELj3ELb1EJPxS1_jEEvDpT3_.uses_flat_scratch, 0
	.set _Z6kernelI13subtract_leftLj256ELj3ELb1EJPxS1_jEEvDpT3_.has_dyn_sized_stack, 0
	.set _Z6kernelI13subtract_leftLj256ELj3ELb1EJPxS1_jEEvDpT3_.has_recursion, 0
	.set _Z6kernelI13subtract_leftLj256ELj3ELb1EJPxS1_jEEvDpT3_.has_indirect_call, 0
	.section	.AMDGPU.csdata,"",@progbits
; Kernel info:
; codeLenInByte = 372
; TotalNumSgprs: 10
; NumVgprs: 14
; ScratchSize: 0
; MemoryBound: 0
; FloatMode: 240
; IeeeMode: 1
; LDSByteSize: 4096 bytes/workgroup (compile time only)
; SGPRBlocks: 0
; VGPRBlocks: 1
; NumSGPRsForWavesPerEU: 10
; NumVGPRsForWavesPerEU: 14
; Occupancy: 16
; WaveLimiterHint : 1
; COMPUTE_PGM_RSRC2:SCRATCH_EN: 0
; COMPUTE_PGM_RSRC2:USER_SGPR: 2
; COMPUTE_PGM_RSRC2:TRAP_HANDLER: 0
; COMPUTE_PGM_RSRC2:TGID_X_EN: 1
; COMPUTE_PGM_RSRC2:TGID_Y_EN: 0
; COMPUTE_PGM_RSRC2:TGID_Z_EN: 0
; COMPUTE_PGM_RSRC2:TIDIG_COMP_CNT: 0
	.section	.text._Z6kernelI13subtract_leftLj256ELj4ELb1EJPxS1_jEEvDpT3_,"axG",@progbits,_Z6kernelI13subtract_leftLj256ELj4ELb1EJPxS1_jEEvDpT3_,comdat
	.protected	_Z6kernelI13subtract_leftLj256ELj4ELb1EJPxS1_jEEvDpT3_ ; -- Begin function _Z6kernelI13subtract_leftLj256ELj4ELb1EJPxS1_jEEvDpT3_
	.globl	_Z6kernelI13subtract_leftLj256ELj4ELb1EJPxS1_jEEvDpT3_
	.p2align	8
	.type	_Z6kernelI13subtract_leftLj256ELj4ELb1EJPxS1_jEEvDpT3_,@function
_Z6kernelI13subtract_leftLj256ELj4ELb1EJPxS1_jEEvDpT3_: ; @_Z6kernelI13subtract_leftLj256ELj4ELb1EJPxS1_jEEvDpT3_
; %bb.0:
	s_load_b128 s[4:7], s[0:1], 0x0
	s_lshl_b32 s2, ttmp9, 10
	s_mov_b32 s3, 0
	v_lshlrev_b32_e32 v15, 3, v0
	s_lshl_b64 s[2:3], s[2:3], 3
	s_load_b32 s1, s[0:1], 0x10
	s_wait_kmcnt 0x0
	s_add_nc_u64 s[4:5], s[4:5], s[2:3]
	s_clause 0x3
	global_load_b64 v[7:8], v15, s[4:5]
	global_load_b64 v[3:4], v15, s[4:5] offset:2048
	global_load_b64 v[5:6], v15, s[4:5] offset:4096
	;; [unrolled: 1-line block ×3, first 2 shown]
	s_cmp_eq_u32 s1, 0
	s_cbranch_scc1 .LBB50_6
; %bb.1:
	v_cmp_ne_u32_e32 vcc_lo, 0, v0
	v_add_nc_u32_e32 v0, -8, v15
.LBB50_2:                               ; =>This Inner Loop Header: Depth=1
	v_mov_b32_e32 v9, 0x7b
	v_mov_b32_e32 v10, 0
	s_wait_loadcnt 0x0
	ds_store_b64 v15, v[1:2]
	s_wait_dscnt 0x0
	s_barrier_signal -1
	s_barrier_wait -1
	global_inv scope:SCOPE_SE
	s_and_saveexec_b32 s0, vcc_lo
; %bb.3:                                ;   in Loop: Header=BB50_2 Depth=1
	ds_load_b64 v[9:10], v0
; %bb.4:                                ;   in Loop: Header=BB50_2 Depth=1
	s_wait_alu 0xfffe
	s_or_b32 exec_lo, exec_lo, s0
	v_lshlrev_b64_e32 v[11:12], 1, v[7:8]
	v_lshlrev_b64_e32 v[13:14], 1, v[3:4]
	;; [unrolled: 1-line block ×4, first 2 shown]
	s_add_co_i32 s1, s1, -1
	s_wait_loadcnt_dscnt 0x0
	v_sub_co_u32 v11, s0, v11, v9
	s_wait_alu 0xf1ff
	v_sub_co_ci_u32_e64 v12, null, v12, v10, s0
	v_sub_co_u32 v9, s0, v13, v7
	s_wait_alu 0xf1ff
	v_sub_co_ci_u32_e64 v10, null, v14, v8, s0
	;; [unrolled: 3-line block ×4, first 2 shown]
	s_wait_alu 0xfffe
	s_cmp_lg_u32 s1, 0
	s_barrier_signal -1
	s_barrier_wait -1
	global_inv scope:SCOPE_SE
	s_cbranch_scc0 .LBB50_7
; %bb.5:                                ;   in Loop: Header=BB50_2 Depth=1
	v_dual_mov_b32 v7, v11 :: v_dual_mov_b32 v8, v12
	v_dual_mov_b32 v3, v9 :: v_dual_mov_b32 v4, v10
	;; [unrolled: 1-line block ×3, first 2 shown]
	s_branch .LBB50_2
.LBB50_6:
	s_wait_loadcnt 0x1
	v_dual_mov_b32 v14, v6 :: v_dual_mov_b32 v13, v5
	v_dual_mov_b32 v10, v4 :: v_dual_mov_b32 v9, v3
	;; [unrolled: 1-line block ×3, first 2 shown]
.LBB50_7:
	s_add_nc_u64 s[0:1], s[6:7], s[2:3]
	s_clause 0x2
	global_store_b64 v15, v[11:12], s[0:1]
	global_store_b64 v15, v[9:10], s[0:1] offset:2048
	global_store_b64 v15, v[13:14], s[0:1] offset:4096
	s_wait_loadcnt 0x0
	global_store_b64 v15, v[1:2], s[0:1] offset:6144
	s_endpgm
	.section	.rodata,"a",@progbits
	.p2align	6, 0x0
	.amdhsa_kernel _Z6kernelI13subtract_leftLj256ELj4ELb1EJPxS1_jEEvDpT3_
		.amdhsa_group_segment_fixed_size 4096
		.amdhsa_private_segment_fixed_size 0
		.amdhsa_kernarg_size 20
		.amdhsa_user_sgpr_count 2
		.amdhsa_user_sgpr_dispatch_ptr 0
		.amdhsa_user_sgpr_queue_ptr 0
		.amdhsa_user_sgpr_kernarg_segment_ptr 1
		.amdhsa_user_sgpr_dispatch_id 0
		.amdhsa_user_sgpr_private_segment_size 0
		.amdhsa_wavefront_size32 1
		.amdhsa_uses_dynamic_stack 0
		.amdhsa_enable_private_segment 0
		.amdhsa_system_sgpr_workgroup_id_x 1
		.amdhsa_system_sgpr_workgroup_id_y 0
		.amdhsa_system_sgpr_workgroup_id_z 0
		.amdhsa_system_sgpr_workgroup_info 0
		.amdhsa_system_vgpr_workitem_id 0
		.amdhsa_next_free_vgpr 18
		.amdhsa_next_free_sgpr 8
		.amdhsa_reserve_vcc 1
		.amdhsa_float_round_mode_32 0
		.amdhsa_float_round_mode_16_64 0
		.amdhsa_float_denorm_mode_32 3
		.amdhsa_float_denorm_mode_16_64 3
		.amdhsa_fp16_overflow 0
		.amdhsa_workgroup_processor_mode 1
		.amdhsa_memory_ordered 1
		.amdhsa_forward_progress 1
		.amdhsa_inst_pref_size 4
		.amdhsa_round_robin_scheduling 0
		.amdhsa_exception_fp_ieee_invalid_op 0
		.amdhsa_exception_fp_denorm_src 0
		.amdhsa_exception_fp_ieee_div_zero 0
		.amdhsa_exception_fp_ieee_overflow 0
		.amdhsa_exception_fp_ieee_underflow 0
		.amdhsa_exception_fp_ieee_inexact 0
		.amdhsa_exception_int_div_zero 0
	.end_amdhsa_kernel
	.section	.text._Z6kernelI13subtract_leftLj256ELj4ELb1EJPxS1_jEEvDpT3_,"axG",@progbits,_Z6kernelI13subtract_leftLj256ELj4ELb1EJPxS1_jEEvDpT3_,comdat
.Lfunc_end50:
	.size	_Z6kernelI13subtract_leftLj256ELj4ELb1EJPxS1_jEEvDpT3_, .Lfunc_end50-_Z6kernelI13subtract_leftLj256ELj4ELb1EJPxS1_jEEvDpT3_
                                        ; -- End function
	.set _Z6kernelI13subtract_leftLj256ELj4ELb1EJPxS1_jEEvDpT3_.num_vgpr, 18
	.set _Z6kernelI13subtract_leftLj256ELj4ELb1EJPxS1_jEEvDpT3_.num_agpr, 0
	.set _Z6kernelI13subtract_leftLj256ELj4ELb1EJPxS1_jEEvDpT3_.numbered_sgpr, 8
	.set _Z6kernelI13subtract_leftLj256ELj4ELb1EJPxS1_jEEvDpT3_.num_named_barrier, 0
	.set _Z6kernelI13subtract_leftLj256ELj4ELb1EJPxS1_jEEvDpT3_.private_seg_size, 0
	.set _Z6kernelI13subtract_leftLj256ELj4ELb1EJPxS1_jEEvDpT3_.uses_vcc, 1
	.set _Z6kernelI13subtract_leftLj256ELj4ELb1EJPxS1_jEEvDpT3_.uses_flat_scratch, 0
	.set _Z6kernelI13subtract_leftLj256ELj4ELb1EJPxS1_jEEvDpT3_.has_dyn_sized_stack, 0
	.set _Z6kernelI13subtract_leftLj256ELj4ELb1EJPxS1_jEEvDpT3_.has_recursion, 0
	.set _Z6kernelI13subtract_leftLj256ELj4ELb1EJPxS1_jEEvDpT3_.has_indirect_call, 0
	.section	.AMDGPU.csdata,"",@progbits
; Kernel info:
; codeLenInByte = 432
; TotalNumSgprs: 10
; NumVgprs: 18
; ScratchSize: 0
; MemoryBound: 0
; FloatMode: 240
; IeeeMode: 1
; LDSByteSize: 4096 bytes/workgroup (compile time only)
; SGPRBlocks: 0
; VGPRBlocks: 2
; NumSGPRsForWavesPerEU: 10
; NumVGPRsForWavesPerEU: 18
; Occupancy: 16
; WaveLimiterHint : 1
; COMPUTE_PGM_RSRC2:SCRATCH_EN: 0
; COMPUTE_PGM_RSRC2:USER_SGPR: 2
; COMPUTE_PGM_RSRC2:TRAP_HANDLER: 0
; COMPUTE_PGM_RSRC2:TGID_X_EN: 1
; COMPUTE_PGM_RSRC2:TGID_Y_EN: 0
; COMPUTE_PGM_RSRC2:TGID_Z_EN: 0
; COMPUTE_PGM_RSRC2:TIDIG_COMP_CNT: 0
	.section	.text._Z6kernelI13subtract_leftLj256ELj8ELb1EJPxS1_jEEvDpT3_,"axG",@progbits,_Z6kernelI13subtract_leftLj256ELj8ELb1EJPxS1_jEEvDpT3_,comdat
	.protected	_Z6kernelI13subtract_leftLj256ELj8ELb1EJPxS1_jEEvDpT3_ ; -- Begin function _Z6kernelI13subtract_leftLj256ELj8ELb1EJPxS1_jEEvDpT3_
	.globl	_Z6kernelI13subtract_leftLj256ELj8ELb1EJPxS1_jEEvDpT3_
	.p2align	8
	.type	_Z6kernelI13subtract_leftLj256ELj8ELb1EJPxS1_jEEvDpT3_,@function
_Z6kernelI13subtract_leftLj256ELj8ELb1EJPxS1_jEEvDpT3_: ; @_Z6kernelI13subtract_leftLj256ELj8ELb1EJPxS1_jEEvDpT3_
; %bb.0:
	s_load_b128 s[4:7], s[0:1], 0x0
	s_lshl_b32 s2, ttmp9, 11
	s_mov_b32 s3, 0
	v_lshlrev_b32_e32 v19, 3, v0
	s_lshl_b64 s[2:3], s[2:3], 3
	s_load_b32 s1, s[0:1], 0x10
	s_wait_kmcnt 0x0
	s_add_nc_u64 s[4:5], s[4:5], s[2:3]
	s_clause 0x7
	global_load_b64 v[1:2], v19, s[4:5]
	global_load_b64 v[3:4], v19, s[4:5] offset:2048
	global_load_b64 v[5:6], v19, s[4:5] offset:4096
	global_load_b64 v[7:8], v19, s[4:5] offset:6144
	global_load_b64 v[9:10], v19, s[4:5] offset:8192
	global_load_b64 v[11:12], v19, s[4:5] offset:10240
	global_load_b64 v[13:14], v19, s[4:5] offset:12288
	global_load_b64 v[15:16], v19, s[4:5] offset:14336
	s_cmp_eq_u32 s1, 0
	s_cbranch_scc1 .LBB51_5
; %bb.1:
	v_cmp_ne_u32_e32 vcc_lo, 0, v0
	v_add_nc_u32_e32 v0, -8, v19
	s_branch .LBB51_3
.LBB51_2:                               ;   in Loop: Header=BB51_3 Depth=1
	s_wait_alu 0xfffe
	s_or_b32 exec_lo, exec_lo, s0
	v_sub_co_u32 v20, s0, v15, v13
	s_wait_alu 0xf1ff
	v_sub_co_ci_u32_e64 v21, null, v16, v14, s0
	v_sub_co_u32 v22, s0, v13, v11
	s_wait_alu 0xf1ff
	v_sub_co_ci_u32_e64 v23, null, v14, v12, s0
	;; [unrolled: 3-line block ×6, first 2 shown]
	s_wait_dscnt 0x0
	v_sub_co_u32 v17, s0, v1, v17
	s_wait_alu 0xf1ff
	v_sub_co_ci_u32_e64 v18, null, v2, v18, s0
	v_sub_co_u32 v32, s0, v3, v1
	s_wait_alu 0xf1ff
	v_sub_co_ci_u32_e64 v33, null, v4, v2, s0
	v_add_co_u32 v1, s0, v17, v1
	s_wait_alu 0xf1ff
	v_add_co_ci_u32_e64 v2, null, v18, v2, s0
	v_add_co_u32 v3, s0, v32, v3
	s_wait_alu 0xf1ff
	v_add_co_ci_u32_e64 v4, null, v33, v4, s0
	;; [unrolled: 3-line block ×8, first 2 shown]
	s_add_co_i32 s1, s1, -1
	s_wait_loadcnt 0x0
	s_wait_alu 0xfffe
	s_cmp_lg_u32 s1, 0
	s_barrier_signal -1
	s_barrier_wait -1
	global_inv scope:SCOPE_SE
	s_cbranch_scc0 .LBB51_5
.LBB51_3:                               ; =>This Inner Loop Header: Depth=1
	v_mov_b32_e32 v17, 0x7b
	v_mov_b32_e32 v18, 0
	s_wait_loadcnt 0x0
	ds_store_b64 v19, v[15:16]
	s_wait_dscnt 0x0
	s_barrier_signal -1
	s_barrier_wait -1
	global_inv scope:SCOPE_SE
	s_and_saveexec_b32 s0, vcc_lo
	s_cbranch_execz .LBB51_2
; %bb.4:                                ;   in Loop: Header=BB51_3 Depth=1
	ds_load_b64 v[17:18], v0
	s_branch .LBB51_2
.LBB51_5:
	s_add_nc_u64 s[0:1], s[6:7], s[2:3]
	s_wait_loadcnt 0x7
	global_store_b64 v19, v[1:2], s[0:1]
	s_wait_loadcnt 0x6
	global_store_b64 v19, v[3:4], s[0:1] offset:2048
	s_wait_loadcnt 0x5
	global_store_b64 v19, v[5:6], s[0:1] offset:4096
	;; [unrolled: 2-line block ×7, first 2 shown]
	s_endpgm
	.section	.rodata,"a",@progbits
	.p2align	6, 0x0
	.amdhsa_kernel _Z6kernelI13subtract_leftLj256ELj8ELb1EJPxS1_jEEvDpT3_
		.amdhsa_group_segment_fixed_size 4096
		.amdhsa_private_segment_fixed_size 0
		.amdhsa_kernarg_size 20
		.amdhsa_user_sgpr_count 2
		.amdhsa_user_sgpr_dispatch_ptr 0
		.amdhsa_user_sgpr_queue_ptr 0
		.amdhsa_user_sgpr_kernarg_segment_ptr 1
		.amdhsa_user_sgpr_dispatch_id 0
		.amdhsa_user_sgpr_private_segment_size 0
		.amdhsa_wavefront_size32 1
		.amdhsa_uses_dynamic_stack 0
		.amdhsa_enable_private_segment 0
		.amdhsa_system_sgpr_workgroup_id_x 1
		.amdhsa_system_sgpr_workgroup_id_y 0
		.amdhsa_system_sgpr_workgroup_id_z 0
		.amdhsa_system_sgpr_workgroup_info 0
		.amdhsa_system_vgpr_workitem_id 0
		.amdhsa_next_free_vgpr 34
		.amdhsa_next_free_sgpr 8
		.amdhsa_reserve_vcc 1
		.amdhsa_float_round_mode_32 0
		.amdhsa_float_round_mode_16_64 0
		.amdhsa_float_denorm_mode_32 3
		.amdhsa_float_denorm_mode_16_64 3
		.amdhsa_fp16_overflow 0
		.amdhsa_workgroup_processor_mode 1
		.amdhsa_memory_ordered 1
		.amdhsa_forward_progress 1
		.amdhsa_inst_pref_size 6
		.amdhsa_round_robin_scheduling 0
		.amdhsa_exception_fp_ieee_invalid_op 0
		.amdhsa_exception_fp_denorm_src 0
		.amdhsa_exception_fp_ieee_div_zero 0
		.amdhsa_exception_fp_ieee_overflow 0
		.amdhsa_exception_fp_ieee_underflow 0
		.amdhsa_exception_fp_ieee_inexact 0
		.amdhsa_exception_int_div_zero 0
	.end_amdhsa_kernel
	.section	.text._Z6kernelI13subtract_leftLj256ELj8ELb1EJPxS1_jEEvDpT3_,"axG",@progbits,_Z6kernelI13subtract_leftLj256ELj8ELb1EJPxS1_jEEvDpT3_,comdat
.Lfunc_end51:
	.size	_Z6kernelI13subtract_leftLj256ELj8ELb1EJPxS1_jEEvDpT3_, .Lfunc_end51-_Z6kernelI13subtract_leftLj256ELj8ELb1EJPxS1_jEEvDpT3_
                                        ; -- End function
	.set _Z6kernelI13subtract_leftLj256ELj8ELb1EJPxS1_jEEvDpT3_.num_vgpr, 34
	.set _Z6kernelI13subtract_leftLj256ELj8ELb1EJPxS1_jEEvDpT3_.num_agpr, 0
	.set _Z6kernelI13subtract_leftLj256ELj8ELb1EJPxS1_jEEvDpT3_.numbered_sgpr, 8
	.set _Z6kernelI13subtract_leftLj256ELj8ELb1EJPxS1_jEEvDpT3_.num_named_barrier, 0
	.set _Z6kernelI13subtract_leftLj256ELj8ELb1EJPxS1_jEEvDpT3_.private_seg_size, 0
	.set _Z6kernelI13subtract_leftLj256ELj8ELb1EJPxS1_jEEvDpT3_.uses_vcc, 1
	.set _Z6kernelI13subtract_leftLj256ELj8ELb1EJPxS1_jEEvDpT3_.uses_flat_scratch, 0
	.set _Z6kernelI13subtract_leftLj256ELj8ELb1EJPxS1_jEEvDpT3_.has_dyn_sized_stack, 0
	.set _Z6kernelI13subtract_leftLj256ELj8ELb1EJPxS1_jEEvDpT3_.has_recursion, 0
	.set _Z6kernelI13subtract_leftLj256ELj8ELb1EJPxS1_jEEvDpT3_.has_indirect_call, 0
	.section	.AMDGPU.csdata,"",@progbits
; Kernel info:
; codeLenInByte = 736
; TotalNumSgprs: 10
; NumVgprs: 34
; ScratchSize: 0
; MemoryBound: 0
; FloatMode: 240
; IeeeMode: 1
; LDSByteSize: 4096 bytes/workgroup (compile time only)
; SGPRBlocks: 0
; VGPRBlocks: 4
; NumSGPRsForWavesPerEU: 10
; NumVGPRsForWavesPerEU: 34
; Occupancy: 16
; WaveLimiterHint : 1
; COMPUTE_PGM_RSRC2:SCRATCH_EN: 0
; COMPUTE_PGM_RSRC2:USER_SGPR: 2
; COMPUTE_PGM_RSRC2:TRAP_HANDLER: 0
; COMPUTE_PGM_RSRC2:TGID_X_EN: 1
; COMPUTE_PGM_RSRC2:TGID_Y_EN: 0
; COMPUTE_PGM_RSRC2:TGID_Z_EN: 0
; COMPUTE_PGM_RSRC2:TIDIG_COMP_CNT: 0
	.section	.text._Z6kernelI13subtract_leftLj256ELj16ELb1EJPxS1_jEEvDpT3_,"axG",@progbits,_Z6kernelI13subtract_leftLj256ELj16ELb1EJPxS1_jEEvDpT3_,comdat
	.protected	_Z6kernelI13subtract_leftLj256ELj16ELb1EJPxS1_jEEvDpT3_ ; -- Begin function _Z6kernelI13subtract_leftLj256ELj16ELb1EJPxS1_jEEvDpT3_
	.globl	_Z6kernelI13subtract_leftLj256ELj16ELb1EJPxS1_jEEvDpT3_
	.p2align	8
	.type	_Z6kernelI13subtract_leftLj256ELj16ELb1EJPxS1_jEEvDpT3_,@function
_Z6kernelI13subtract_leftLj256ELj16ELb1EJPxS1_jEEvDpT3_: ; @_Z6kernelI13subtract_leftLj256ELj16ELb1EJPxS1_jEEvDpT3_
; %bb.0:
	s_load_b128 s[4:7], s[0:1], 0x0
	s_lshl_b32 s2, ttmp9, 12
	s_mov_b32 s3, 0
	v_lshlrev_b32_e32 v35, 3, v0
	s_lshl_b64 s[2:3], s[2:3], 3
	s_load_b32 s1, s[0:1], 0x10
	s_wait_kmcnt 0x0
	s_add_nc_u64 s[4:5], s[4:5], s[2:3]
	s_clause 0xf
	global_load_b64 v[1:2], v35, s[4:5]
	global_load_b64 v[3:4], v35, s[4:5] offset:2048
	global_load_b64 v[5:6], v35, s[4:5] offset:4096
	;; [unrolled: 1-line block ×15, first 2 shown]
	s_cmp_eq_u32 s1, 0
	s_cbranch_scc1 .LBB52_5
; %bb.1:
	v_cmp_ne_u32_e32 vcc_lo, 0, v0
	v_add_nc_u32_e32 v0, -8, v35
	s_branch .LBB52_3
.LBB52_2:                               ;   in Loop: Header=BB52_3 Depth=1
	s_wait_alu 0xfffe
	s_or_b32 exec_lo, exec_lo, s0
	v_sub_co_u32 v36, s0, v31, v29
	s_wait_alu 0xf1ff
	v_sub_co_ci_u32_e64 v37, null, v32, v30, s0
	v_sub_co_u32 v38, s0, v29, v27
	s_wait_alu 0xf1ff
	v_sub_co_ci_u32_e64 v39, null, v30, v28, s0
	;; [unrolled: 3-line block ×14, first 2 shown]
	s_wait_dscnt 0x0
	v_sub_co_u32 v33, s0, v1, v33
	s_wait_alu 0xf1ff
	v_sub_co_ci_u32_e64 v34, null, v2, v34, s0
	v_sub_co_u32 v64, s0, v3, v1
	s_wait_alu 0xf1ff
	v_sub_co_ci_u32_e64 v65, null, v4, v2, s0
	v_add_co_u32 v1, s0, v33, v1
	s_wait_alu 0xf1ff
	v_add_co_ci_u32_e64 v2, null, v34, v2, s0
	v_add_co_u32 v3, s0, v64, v3
	s_wait_alu 0xf1ff
	v_add_co_ci_u32_e64 v4, null, v65, v4, s0
	;; [unrolled: 3-line block ×16, first 2 shown]
	s_add_co_i32 s1, s1, -1
	s_wait_loadcnt 0x0
	s_wait_alu 0xfffe
	s_cmp_lg_u32 s1, 0
	s_barrier_signal -1
	s_barrier_wait -1
	global_inv scope:SCOPE_SE
	s_cbranch_scc0 .LBB52_5
.LBB52_3:                               ; =>This Inner Loop Header: Depth=1
	v_mov_b32_e32 v33, 0x7b
	v_mov_b32_e32 v34, 0
	s_wait_loadcnt 0x0
	ds_store_b64 v35, v[31:32]
	s_wait_dscnt 0x0
	s_barrier_signal -1
	s_barrier_wait -1
	global_inv scope:SCOPE_SE
	s_and_saveexec_b32 s0, vcc_lo
	s_cbranch_execz .LBB52_2
; %bb.4:                                ;   in Loop: Header=BB52_3 Depth=1
	ds_load_b64 v[33:34], v0
	s_branch .LBB52_2
.LBB52_5:
	s_add_nc_u64 s[0:1], s[6:7], s[2:3]
	s_wait_loadcnt 0xf
	global_store_b64 v35, v[1:2], s[0:1]
	s_wait_loadcnt 0xe
	global_store_b64 v35, v[3:4], s[0:1] offset:2048
	s_wait_loadcnt 0xd
	global_store_b64 v35, v[5:6], s[0:1] offset:4096
	;; [unrolled: 2-line block ×15, first 2 shown]
	s_endpgm
	.section	.rodata,"a",@progbits
	.p2align	6, 0x0
	.amdhsa_kernel _Z6kernelI13subtract_leftLj256ELj16ELb1EJPxS1_jEEvDpT3_
		.amdhsa_group_segment_fixed_size 4096
		.amdhsa_private_segment_fixed_size 0
		.amdhsa_kernarg_size 20
		.amdhsa_user_sgpr_count 2
		.amdhsa_user_sgpr_dispatch_ptr 0
		.amdhsa_user_sgpr_queue_ptr 0
		.amdhsa_user_sgpr_kernarg_segment_ptr 1
		.amdhsa_user_sgpr_dispatch_id 0
		.amdhsa_user_sgpr_private_segment_size 0
		.amdhsa_wavefront_size32 1
		.amdhsa_uses_dynamic_stack 0
		.amdhsa_enable_private_segment 0
		.amdhsa_system_sgpr_workgroup_id_x 1
		.amdhsa_system_sgpr_workgroup_id_y 0
		.amdhsa_system_sgpr_workgroup_id_z 0
		.amdhsa_system_sgpr_workgroup_info 0
		.amdhsa_system_vgpr_workitem_id 0
		.amdhsa_next_free_vgpr 66
		.amdhsa_next_free_sgpr 8
		.amdhsa_reserve_vcc 1
		.amdhsa_float_round_mode_32 0
		.amdhsa_float_round_mode_16_64 0
		.amdhsa_float_denorm_mode_32 3
		.amdhsa_float_denorm_mode_16_64 3
		.amdhsa_fp16_overflow 0
		.amdhsa_workgroup_processor_mode 1
		.amdhsa_memory_ordered 1
		.amdhsa_forward_progress 1
		.amdhsa_inst_pref_size 10
		.amdhsa_round_robin_scheduling 0
		.amdhsa_exception_fp_ieee_invalid_op 0
		.amdhsa_exception_fp_denorm_src 0
		.amdhsa_exception_fp_ieee_div_zero 0
		.amdhsa_exception_fp_ieee_overflow 0
		.amdhsa_exception_fp_ieee_underflow 0
		.amdhsa_exception_fp_ieee_inexact 0
		.amdhsa_exception_int_div_zero 0
	.end_amdhsa_kernel
	.section	.text._Z6kernelI13subtract_leftLj256ELj16ELb1EJPxS1_jEEvDpT3_,"axG",@progbits,_Z6kernelI13subtract_leftLj256ELj16ELb1EJPxS1_jEEvDpT3_,comdat
.Lfunc_end52:
	.size	_Z6kernelI13subtract_leftLj256ELj16ELb1EJPxS1_jEEvDpT3_, .Lfunc_end52-_Z6kernelI13subtract_leftLj256ELj16ELb1EJPxS1_jEEvDpT3_
                                        ; -- End function
	.set _Z6kernelI13subtract_leftLj256ELj16ELb1EJPxS1_jEEvDpT3_.num_vgpr, 66
	.set _Z6kernelI13subtract_leftLj256ELj16ELb1EJPxS1_jEEvDpT3_.num_agpr, 0
	.set _Z6kernelI13subtract_leftLj256ELj16ELb1EJPxS1_jEEvDpT3_.numbered_sgpr, 8
	.set _Z6kernelI13subtract_leftLj256ELj16ELb1EJPxS1_jEEvDpT3_.num_named_barrier, 0
	.set _Z6kernelI13subtract_leftLj256ELj16ELb1EJPxS1_jEEvDpT3_.private_seg_size, 0
	.set _Z6kernelI13subtract_leftLj256ELj16ELb1EJPxS1_jEEvDpT3_.uses_vcc, 1
	.set _Z6kernelI13subtract_leftLj256ELj16ELb1EJPxS1_jEEvDpT3_.uses_flat_scratch, 0
	.set _Z6kernelI13subtract_leftLj256ELj16ELb1EJPxS1_jEEvDpT3_.has_dyn_sized_stack, 0
	.set _Z6kernelI13subtract_leftLj256ELj16ELb1EJPxS1_jEEvDpT3_.has_recursion, 0
	.set _Z6kernelI13subtract_leftLj256ELj16ELb1EJPxS1_jEEvDpT3_.has_indirect_call, 0
	.section	.AMDGPU.csdata,"",@progbits
; Kernel info:
; codeLenInByte = 1280
; TotalNumSgprs: 10
; NumVgprs: 66
; ScratchSize: 0
; MemoryBound: 0
; FloatMode: 240
; IeeeMode: 1
; LDSByteSize: 4096 bytes/workgroup (compile time only)
; SGPRBlocks: 0
; VGPRBlocks: 8
; NumSGPRsForWavesPerEU: 10
; NumVGPRsForWavesPerEU: 66
; Occupancy: 16
; WaveLimiterHint : 1
; COMPUTE_PGM_RSRC2:SCRATCH_EN: 0
; COMPUTE_PGM_RSRC2:USER_SGPR: 2
; COMPUTE_PGM_RSRC2:TRAP_HANDLER: 0
; COMPUTE_PGM_RSRC2:TGID_X_EN: 1
; COMPUTE_PGM_RSRC2:TGID_Y_EN: 0
; COMPUTE_PGM_RSRC2:TGID_Z_EN: 0
; COMPUTE_PGM_RSRC2:TIDIG_COMP_CNT: 0
	.section	.text._Z6kernelI13subtract_leftLj256ELj32ELb1EJPxS1_jEEvDpT3_,"axG",@progbits,_Z6kernelI13subtract_leftLj256ELj32ELb1EJPxS1_jEEvDpT3_,comdat
	.protected	_Z6kernelI13subtract_leftLj256ELj32ELb1EJPxS1_jEEvDpT3_ ; -- Begin function _Z6kernelI13subtract_leftLj256ELj32ELb1EJPxS1_jEEvDpT3_
	.globl	_Z6kernelI13subtract_leftLj256ELj32ELb1EJPxS1_jEEvDpT3_
	.p2align	8
	.type	_Z6kernelI13subtract_leftLj256ELj32ELb1EJPxS1_jEEvDpT3_,@function
_Z6kernelI13subtract_leftLj256ELj32ELb1EJPxS1_jEEvDpT3_: ; @_Z6kernelI13subtract_leftLj256ELj32ELb1EJPxS1_jEEvDpT3_
; %bb.0:
	s_load_b128 s[4:7], s[0:1], 0x0
	s_lshl_b32 s2, ttmp9, 13
	s_mov_b32 s3, 0
	v_lshlrev_b32_e32 v67, 3, v0
	s_lshl_b64 s[2:3], s[2:3], 3
	s_load_b32 s1, s[0:1], 0x10
	s_wait_kmcnt 0x0
	s_add_nc_u64 s[4:5], s[4:5], s[2:3]
	s_clause 0x1f
	global_load_b64 v[1:2], v67, s[4:5]
	global_load_b64 v[3:4], v67, s[4:5] offset:2048
	global_load_b64 v[5:6], v67, s[4:5] offset:4096
	;; [unrolled: 1-line block ×31, first 2 shown]
	s_cmp_eq_u32 s1, 0
	s_cbranch_scc1 .LBB53_5
; %bb.1:
	v_cmp_ne_u32_e32 vcc_lo, 0, v0
	v_add_nc_u32_e32 v0, -8, v67
	s_branch .LBB53_3
.LBB53_2:                               ;   in Loop: Header=BB53_3 Depth=1
	s_wait_alu 0xfffe
	s_or_b32 exec_lo, exec_lo, s0
	v_sub_co_u32 v68, s0, v63, v61
	s_wait_alu 0xf1ff
	v_sub_co_ci_u32_e64 v69, null, v64, v62, s0
	v_sub_co_u32 v70, s0, v61, v59
	s_wait_alu 0xf1ff
	v_sub_co_ci_u32_e64 v71, null, v62, v60, s0
	;; [unrolled: 3-line block ×12, first 2 shown]
	s_wait_dscnt 0x0
	v_sub_co_u32 v65, s0, v1, v65
	s_wait_alu 0xf1ff
	v_sub_co_ci_u32_e64 v66, null, v2, v66, s0
	v_sub_co_u32 v92, s0, v3, v1
	s_wait_alu 0xf1ff
	v_sub_co_ci_u32_e64 v93, null, v4, v2, s0
	v_add_co_u32 v1, s0, v65, v1
	s_wait_alu 0xf1ff
	v_add_co_ci_u32_e64 v2, null, v66, v2, s0
	v_sub_co_u32 v65, s0, v5, v3
	s_wait_alu 0xf1ff
	v_sub_co_ci_u32_e64 v66, null, v6, v4, s0
	v_add_co_u32 v3, s0, v92, v3
	s_wait_alu 0xf1ff
	v_add_co_ci_u32_e64 v4, null, v93, v4, s0
	;; [unrolled: 6-line block ×19, first 2 shown]
	v_add_co_u32 v39, s0, v92, v39
	s_wait_alu 0xf1ff
	v_add_co_ci_u32_e64 v40, null, v93, v40, s0
	v_add_co_u32 v41, s0, v90, v41
	s_wait_alu 0xf1ff
	v_add_co_ci_u32_e64 v42, null, v91, v42, s0
	;; [unrolled: 3-line block ×13, first 2 shown]
	s_add_co_i32 s1, s1, -1
	s_wait_loadcnt 0x0
	s_wait_alu 0xfffe
	s_cmp_lg_u32 s1, 0
	s_barrier_signal -1
	s_barrier_wait -1
	global_inv scope:SCOPE_SE
	s_cbranch_scc0 .LBB53_5
.LBB53_3:                               ; =>This Inner Loop Header: Depth=1
	v_mov_b32_e32 v65, 0x7b
	v_mov_b32_e32 v66, 0
	s_wait_loadcnt 0x0
	ds_store_b64 v67, v[63:64]
	s_wait_dscnt 0x0
	s_barrier_signal -1
	s_barrier_wait -1
	global_inv scope:SCOPE_SE
	s_and_saveexec_b32 s0, vcc_lo
	s_cbranch_execz .LBB53_2
; %bb.4:                                ;   in Loop: Header=BB53_3 Depth=1
	ds_load_b64 v[65:66], v0
	s_branch .LBB53_2
.LBB53_5:
	s_add_nc_u64 s[0:1], s[6:7], s[2:3]
	s_wait_loadcnt 0x1f
	global_store_b64 v67, v[1:2], s[0:1]
	s_wait_loadcnt 0x1e
	global_store_b64 v67, v[3:4], s[0:1] offset:2048
	s_wait_loadcnt 0x1d
	global_store_b64 v67, v[5:6], s[0:1] offset:4096
	;; [unrolled: 2-line block ×31, first 2 shown]
	s_endpgm
	.section	.rodata,"a",@progbits
	.p2align	6, 0x0
	.amdhsa_kernel _Z6kernelI13subtract_leftLj256ELj32ELb1EJPxS1_jEEvDpT3_
		.amdhsa_group_segment_fixed_size 4096
		.amdhsa_private_segment_fixed_size 0
		.amdhsa_kernarg_size 20
		.amdhsa_user_sgpr_count 2
		.amdhsa_user_sgpr_dispatch_ptr 0
		.amdhsa_user_sgpr_queue_ptr 0
		.amdhsa_user_sgpr_kernarg_segment_ptr 1
		.amdhsa_user_sgpr_dispatch_id 0
		.amdhsa_user_sgpr_private_segment_size 0
		.amdhsa_wavefront_size32 1
		.amdhsa_uses_dynamic_stack 0
		.amdhsa_enable_private_segment 0
		.amdhsa_system_sgpr_workgroup_id_x 1
		.amdhsa_system_sgpr_workgroup_id_y 0
		.amdhsa_system_sgpr_workgroup_id_z 0
		.amdhsa_system_sgpr_workgroup_info 0
		.amdhsa_system_vgpr_workitem_id 0
		.amdhsa_next_free_vgpr 94
		.amdhsa_next_free_sgpr 8
		.amdhsa_reserve_vcc 1
		.amdhsa_float_round_mode_32 0
		.amdhsa_float_round_mode_16_64 0
		.amdhsa_float_denorm_mode_32 3
		.amdhsa_float_denorm_mode_16_64 3
		.amdhsa_fp16_overflow 0
		.amdhsa_workgroup_processor_mode 1
		.amdhsa_memory_ordered 1
		.amdhsa_forward_progress 1
		.amdhsa_inst_pref_size 19
		.amdhsa_round_robin_scheduling 0
		.amdhsa_exception_fp_ieee_invalid_op 0
		.amdhsa_exception_fp_denorm_src 0
		.amdhsa_exception_fp_ieee_div_zero 0
		.amdhsa_exception_fp_ieee_overflow 0
		.amdhsa_exception_fp_ieee_underflow 0
		.amdhsa_exception_fp_ieee_inexact 0
		.amdhsa_exception_int_div_zero 0
	.end_amdhsa_kernel
	.section	.text._Z6kernelI13subtract_leftLj256ELj32ELb1EJPxS1_jEEvDpT3_,"axG",@progbits,_Z6kernelI13subtract_leftLj256ELj32ELb1EJPxS1_jEEvDpT3_,comdat
.Lfunc_end53:
	.size	_Z6kernelI13subtract_leftLj256ELj32ELb1EJPxS1_jEEvDpT3_, .Lfunc_end53-_Z6kernelI13subtract_leftLj256ELj32ELb1EJPxS1_jEEvDpT3_
                                        ; -- End function
	.set _Z6kernelI13subtract_leftLj256ELj32ELb1EJPxS1_jEEvDpT3_.num_vgpr, 94
	.set _Z6kernelI13subtract_leftLj256ELj32ELb1EJPxS1_jEEvDpT3_.num_agpr, 0
	.set _Z6kernelI13subtract_leftLj256ELj32ELb1EJPxS1_jEEvDpT3_.numbered_sgpr, 8
	.set _Z6kernelI13subtract_leftLj256ELj32ELb1EJPxS1_jEEvDpT3_.num_named_barrier, 0
	.set _Z6kernelI13subtract_leftLj256ELj32ELb1EJPxS1_jEEvDpT3_.private_seg_size, 0
	.set _Z6kernelI13subtract_leftLj256ELj32ELb1EJPxS1_jEEvDpT3_.uses_vcc, 1
	.set _Z6kernelI13subtract_leftLj256ELj32ELb1EJPxS1_jEEvDpT3_.uses_flat_scratch, 0
	.set _Z6kernelI13subtract_leftLj256ELj32ELb1EJPxS1_jEEvDpT3_.has_dyn_sized_stack, 0
	.set _Z6kernelI13subtract_leftLj256ELj32ELb1EJPxS1_jEEvDpT3_.has_recursion, 0
	.set _Z6kernelI13subtract_leftLj256ELj32ELb1EJPxS1_jEEvDpT3_.has_indirect_call, 0
	.section	.AMDGPU.csdata,"",@progbits
; Kernel info:
; codeLenInByte = 2368
; TotalNumSgprs: 10
; NumVgprs: 94
; ScratchSize: 0
; MemoryBound: 0
; FloatMode: 240
; IeeeMode: 1
; LDSByteSize: 4096 bytes/workgroup (compile time only)
; SGPRBlocks: 0
; VGPRBlocks: 11
; NumSGPRsForWavesPerEU: 10
; NumVGPRsForWavesPerEU: 94
; Occupancy: 16
; WaveLimiterHint : 1
; COMPUTE_PGM_RSRC2:SCRATCH_EN: 0
; COMPUTE_PGM_RSRC2:USER_SGPR: 2
; COMPUTE_PGM_RSRC2:TRAP_HANDLER: 0
; COMPUTE_PGM_RSRC2:TGID_X_EN: 1
; COMPUTE_PGM_RSRC2:TGID_Y_EN: 0
; COMPUTE_PGM_RSRC2:TGID_Z_EN: 0
; COMPUTE_PGM_RSRC2:TIDIG_COMP_CNT: 0
	.section	.text._Z6kernelI13subtract_leftLj256ELj1ELb1EJPdS1_jEEvDpT3_,"axG",@progbits,_Z6kernelI13subtract_leftLj256ELj1ELb1EJPdS1_jEEvDpT3_,comdat
	.protected	_Z6kernelI13subtract_leftLj256ELj1ELb1EJPdS1_jEEvDpT3_ ; -- Begin function _Z6kernelI13subtract_leftLj256ELj1ELb1EJPdS1_jEEvDpT3_
	.globl	_Z6kernelI13subtract_leftLj256ELj1ELb1EJPdS1_jEEvDpT3_
	.p2align	8
	.type	_Z6kernelI13subtract_leftLj256ELj1ELb1EJPdS1_jEEvDpT3_,@function
_Z6kernelI13subtract_leftLj256ELj1ELb1EJPdS1_jEEvDpT3_: ; @_Z6kernelI13subtract_leftLj256ELj1ELb1EJPdS1_jEEvDpT3_
; %bb.0:
	s_load_b128 s[4:7], s[0:1], 0x0
	s_lshl_b32 s2, ttmp9, 8
	s_mov_b32 s3, 0
	v_lshlrev_b32_e32 v5, 3, v0
	s_lshl_b64 s[2:3], s[2:3], 3
	s_load_b32 s0, s[0:1], 0x10
	s_wait_kmcnt 0x0
	s_add_nc_u64 s[4:5], s[4:5], s[2:3]
	global_load_b64 v[1:2], v5, s[4:5]
	s_cmp_eq_u32 s0, 0
	s_cbranch_scc1 .LBB54_5
; %bb.1:
	v_cmp_ne_u32_e32 vcc_lo, 0, v0
	v_add_nc_u32_e32 v0, -8, v5
	s_branch .LBB54_3
.LBB54_2:                               ;   in Loop: Header=BB54_3 Depth=1
	s_or_b32 exec_lo, exec_lo, s1
	s_wait_dscnt 0x0
	v_add_f64_e64 v[3:4], v[1:2], -v[3:4]
	s_add_co_i32 s0, s0, -1
	s_wait_loadcnt 0x0
	s_cmp_lg_u32 s0, 0
	s_barrier_signal -1
	s_barrier_wait -1
	global_inv scope:SCOPE_SE
	v_add_f64_e32 v[1:2], v[1:2], v[3:4]
	s_cbranch_scc0 .LBB54_5
.LBB54_3:                               ; =>This Inner Loop Header: Depth=1
	v_mov_b32_e32 v3, 0
	v_mov_b32_e32 v4, 0x405ec000
	s_wait_loadcnt 0x0
	ds_store_b64 v5, v[1:2]
	s_wait_dscnt 0x0
	s_barrier_signal -1
	s_barrier_wait -1
	global_inv scope:SCOPE_SE
	s_and_saveexec_b32 s1, vcc_lo
	s_cbranch_execz .LBB54_2
; %bb.4:                                ;   in Loop: Header=BB54_3 Depth=1
	ds_load_b64 v[3:4], v0
	s_branch .LBB54_2
.LBB54_5:
	s_add_nc_u64 s[0:1], s[6:7], s[2:3]
	s_wait_loadcnt 0x0
	global_store_b64 v5, v[1:2], s[0:1]
	s_endpgm
	.section	.rodata,"a",@progbits
	.p2align	6, 0x0
	.amdhsa_kernel _Z6kernelI13subtract_leftLj256ELj1ELb1EJPdS1_jEEvDpT3_
		.amdhsa_group_segment_fixed_size 4096
		.amdhsa_private_segment_fixed_size 0
		.amdhsa_kernarg_size 20
		.amdhsa_user_sgpr_count 2
		.amdhsa_user_sgpr_dispatch_ptr 0
		.amdhsa_user_sgpr_queue_ptr 0
		.amdhsa_user_sgpr_kernarg_segment_ptr 1
		.amdhsa_user_sgpr_dispatch_id 0
		.amdhsa_user_sgpr_private_segment_size 0
		.amdhsa_wavefront_size32 1
		.amdhsa_uses_dynamic_stack 0
		.amdhsa_enable_private_segment 0
		.amdhsa_system_sgpr_workgroup_id_x 1
		.amdhsa_system_sgpr_workgroup_id_y 0
		.amdhsa_system_sgpr_workgroup_id_z 0
		.amdhsa_system_sgpr_workgroup_info 0
		.amdhsa_system_vgpr_workitem_id 0
		.amdhsa_next_free_vgpr 6
		.amdhsa_next_free_sgpr 8
		.amdhsa_reserve_vcc 1
		.amdhsa_float_round_mode_32 0
		.amdhsa_float_round_mode_16_64 0
		.amdhsa_float_denorm_mode_32 3
		.amdhsa_float_denorm_mode_16_64 3
		.amdhsa_fp16_overflow 0
		.amdhsa_workgroup_processor_mode 1
		.amdhsa_memory_ordered 1
		.amdhsa_forward_progress 1
		.amdhsa_inst_pref_size 2
		.amdhsa_round_robin_scheduling 0
		.amdhsa_exception_fp_ieee_invalid_op 0
		.amdhsa_exception_fp_denorm_src 0
		.amdhsa_exception_fp_ieee_div_zero 0
		.amdhsa_exception_fp_ieee_overflow 0
		.amdhsa_exception_fp_ieee_underflow 0
		.amdhsa_exception_fp_ieee_inexact 0
		.amdhsa_exception_int_div_zero 0
	.end_amdhsa_kernel
	.section	.text._Z6kernelI13subtract_leftLj256ELj1ELb1EJPdS1_jEEvDpT3_,"axG",@progbits,_Z6kernelI13subtract_leftLj256ELj1ELb1EJPdS1_jEEvDpT3_,comdat
.Lfunc_end54:
	.size	_Z6kernelI13subtract_leftLj256ELj1ELb1EJPdS1_jEEvDpT3_, .Lfunc_end54-_Z6kernelI13subtract_leftLj256ELj1ELb1EJPdS1_jEEvDpT3_
                                        ; -- End function
	.set _Z6kernelI13subtract_leftLj256ELj1ELb1EJPdS1_jEEvDpT3_.num_vgpr, 6
	.set _Z6kernelI13subtract_leftLj256ELj1ELb1EJPdS1_jEEvDpT3_.num_agpr, 0
	.set _Z6kernelI13subtract_leftLj256ELj1ELb1EJPdS1_jEEvDpT3_.numbered_sgpr, 8
	.set _Z6kernelI13subtract_leftLj256ELj1ELb1EJPdS1_jEEvDpT3_.num_named_barrier, 0
	.set _Z6kernelI13subtract_leftLj256ELj1ELb1EJPdS1_jEEvDpT3_.private_seg_size, 0
	.set _Z6kernelI13subtract_leftLj256ELj1ELb1EJPdS1_jEEvDpT3_.uses_vcc, 1
	.set _Z6kernelI13subtract_leftLj256ELj1ELb1EJPdS1_jEEvDpT3_.uses_flat_scratch, 0
	.set _Z6kernelI13subtract_leftLj256ELj1ELb1EJPdS1_jEEvDpT3_.has_dyn_sized_stack, 0
	.set _Z6kernelI13subtract_leftLj256ELj1ELb1EJPdS1_jEEvDpT3_.has_recursion, 0
	.set _Z6kernelI13subtract_leftLj256ELj1ELb1EJPdS1_jEEvDpT3_.has_indirect_call, 0
	.section	.AMDGPU.csdata,"",@progbits
; Kernel info:
; codeLenInByte = 220
; TotalNumSgprs: 10
; NumVgprs: 6
; ScratchSize: 0
; MemoryBound: 0
; FloatMode: 240
; IeeeMode: 1
; LDSByteSize: 4096 bytes/workgroup (compile time only)
; SGPRBlocks: 0
; VGPRBlocks: 0
; NumSGPRsForWavesPerEU: 10
; NumVGPRsForWavesPerEU: 6
; Occupancy: 16
; WaveLimiterHint : 0
; COMPUTE_PGM_RSRC2:SCRATCH_EN: 0
; COMPUTE_PGM_RSRC2:USER_SGPR: 2
; COMPUTE_PGM_RSRC2:TRAP_HANDLER: 0
; COMPUTE_PGM_RSRC2:TGID_X_EN: 1
; COMPUTE_PGM_RSRC2:TGID_Y_EN: 0
; COMPUTE_PGM_RSRC2:TGID_Z_EN: 0
; COMPUTE_PGM_RSRC2:TIDIG_COMP_CNT: 0
	.section	.text._Z6kernelI13subtract_leftLj256ELj3ELb1EJPdS1_jEEvDpT3_,"axG",@progbits,_Z6kernelI13subtract_leftLj256ELj3ELb1EJPdS1_jEEvDpT3_,comdat
	.protected	_Z6kernelI13subtract_leftLj256ELj3ELb1EJPdS1_jEEvDpT3_ ; -- Begin function _Z6kernelI13subtract_leftLj256ELj3ELb1EJPdS1_jEEvDpT3_
	.globl	_Z6kernelI13subtract_leftLj256ELj3ELb1EJPdS1_jEEvDpT3_
	.p2align	8
	.type	_Z6kernelI13subtract_leftLj256ELj3ELb1EJPdS1_jEEvDpT3_,@function
_Z6kernelI13subtract_leftLj256ELj3ELb1EJPdS1_jEEvDpT3_: ; @_Z6kernelI13subtract_leftLj256ELj3ELb1EJPdS1_jEEvDpT3_
; %bb.0:
	s_load_b128 s[4:7], s[0:1], 0x0
	s_mul_i32 s2, ttmp9, 0x300
	s_mov_b32 s3, 0
	v_lshlrev_b32_e32 v9, 3, v0
	s_lshl_b64 s[2:3], s[2:3], 3
	s_load_b32 s0, s[0:1], 0x10
	s_wait_kmcnt 0x0
	s_add_nc_u64 s[4:5], s[4:5], s[2:3]
	s_clause 0x2
	global_load_b64 v[5:6], v9, s[4:5]
	global_load_b64 v[3:4], v9, s[4:5] offset:2048
	global_load_b64 v[1:2], v9, s[4:5] offset:4096
	s_cmp_eq_u32 s0, 0
	s_cbranch_scc1 .LBB55_5
; %bb.1:
	v_cmp_ne_u32_e32 vcc_lo, 0, v0
	v_add_nc_u32_e32 v0, -8, v9
	s_branch .LBB55_3
.LBB55_2:                               ;   in Loop: Header=BB55_3 Depth=1
	s_or_b32 exec_lo, exec_lo, s1
	s_wait_dscnt 0x0
	v_add_f64_e64 v[7:8], v[5:6], -v[7:8]
	v_add_f64_e64 v[10:11], v[3:4], -v[5:6]
	;; [unrolled: 1-line block ×3, first 2 shown]
	s_add_co_i32 s0, s0, -1
	s_wait_loadcnt 0x0
	s_cmp_lg_u32 s0, 0
	s_barrier_signal -1
	s_barrier_wait -1
	global_inv scope:SCOPE_SE
	v_add_f64_e32 v[5:6], v[5:6], v[7:8]
	v_add_f64_e32 v[3:4], v[3:4], v[10:11]
	;; [unrolled: 1-line block ×3, first 2 shown]
	s_cbranch_scc0 .LBB55_5
.LBB55_3:                               ; =>This Inner Loop Header: Depth=1
	v_mov_b32_e32 v7, 0
	v_mov_b32_e32 v8, 0x405ec000
	s_wait_loadcnt 0x0
	ds_store_b64 v9, v[1:2]
	s_wait_dscnt 0x0
	s_barrier_signal -1
	s_barrier_wait -1
	global_inv scope:SCOPE_SE
	s_and_saveexec_b32 s1, vcc_lo
	s_cbranch_execz .LBB55_2
; %bb.4:                                ;   in Loop: Header=BB55_3 Depth=1
	ds_load_b64 v[7:8], v0
	s_branch .LBB55_2
.LBB55_5:
	s_add_nc_u64 s[0:1], s[6:7], s[2:3]
	s_wait_loadcnt 0x2
	global_store_b64 v9, v[5:6], s[0:1]
	s_wait_loadcnt 0x1
	global_store_b64 v9, v[3:4], s[0:1] offset:2048
	s_wait_loadcnt 0x0
	global_store_b64 v9, v[1:2], s[0:1] offset:4096
	s_endpgm
	.section	.rodata,"a",@progbits
	.p2align	6, 0x0
	.amdhsa_kernel _Z6kernelI13subtract_leftLj256ELj3ELb1EJPdS1_jEEvDpT3_
		.amdhsa_group_segment_fixed_size 4096
		.amdhsa_private_segment_fixed_size 0
		.amdhsa_kernarg_size 20
		.amdhsa_user_sgpr_count 2
		.amdhsa_user_sgpr_dispatch_ptr 0
		.amdhsa_user_sgpr_queue_ptr 0
		.amdhsa_user_sgpr_kernarg_segment_ptr 1
		.amdhsa_user_sgpr_dispatch_id 0
		.amdhsa_user_sgpr_private_segment_size 0
		.amdhsa_wavefront_size32 1
		.amdhsa_uses_dynamic_stack 0
		.amdhsa_enable_private_segment 0
		.amdhsa_system_sgpr_workgroup_id_x 1
		.amdhsa_system_sgpr_workgroup_id_y 0
		.amdhsa_system_sgpr_workgroup_id_z 0
		.amdhsa_system_sgpr_workgroup_info 0
		.amdhsa_system_vgpr_workitem_id 0
		.amdhsa_next_free_vgpr 14
		.amdhsa_next_free_sgpr 8
		.amdhsa_reserve_vcc 1
		.amdhsa_float_round_mode_32 0
		.amdhsa_float_round_mode_16_64 0
		.amdhsa_float_denorm_mode_32 3
		.amdhsa_float_denorm_mode_16_64 3
		.amdhsa_fp16_overflow 0
		.amdhsa_workgroup_processor_mode 1
		.amdhsa_memory_ordered 1
		.amdhsa_forward_progress 1
		.amdhsa_inst_pref_size 3
		.amdhsa_round_robin_scheduling 0
		.amdhsa_exception_fp_ieee_invalid_op 0
		.amdhsa_exception_fp_denorm_src 0
		.amdhsa_exception_fp_ieee_div_zero 0
		.amdhsa_exception_fp_ieee_overflow 0
		.amdhsa_exception_fp_ieee_underflow 0
		.amdhsa_exception_fp_ieee_inexact 0
		.amdhsa_exception_int_div_zero 0
	.end_amdhsa_kernel
	.section	.text._Z6kernelI13subtract_leftLj256ELj3ELb1EJPdS1_jEEvDpT3_,"axG",@progbits,_Z6kernelI13subtract_leftLj256ELj3ELb1EJPdS1_jEEvDpT3_,comdat
.Lfunc_end55:
	.size	_Z6kernelI13subtract_leftLj256ELj3ELb1EJPdS1_jEEvDpT3_, .Lfunc_end55-_Z6kernelI13subtract_leftLj256ELj3ELb1EJPdS1_jEEvDpT3_
                                        ; -- End function
	.set _Z6kernelI13subtract_leftLj256ELj3ELb1EJPdS1_jEEvDpT3_.num_vgpr, 14
	.set _Z6kernelI13subtract_leftLj256ELj3ELb1EJPdS1_jEEvDpT3_.num_agpr, 0
	.set _Z6kernelI13subtract_leftLj256ELj3ELb1EJPdS1_jEEvDpT3_.numbered_sgpr, 8
	.set _Z6kernelI13subtract_leftLj256ELj3ELb1EJPdS1_jEEvDpT3_.num_named_barrier, 0
	.set _Z6kernelI13subtract_leftLj256ELj3ELb1EJPdS1_jEEvDpT3_.private_seg_size, 0
	.set _Z6kernelI13subtract_leftLj256ELj3ELb1EJPdS1_jEEvDpT3_.uses_vcc, 1
	.set _Z6kernelI13subtract_leftLj256ELj3ELb1EJPdS1_jEEvDpT3_.uses_flat_scratch, 0
	.set _Z6kernelI13subtract_leftLj256ELj3ELb1EJPdS1_jEEvDpT3_.has_dyn_sized_stack, 0
	.set _Z6kernelI13subtract_leftLj256ELj3ELb1EJPdS1_jEEvDpT3_.has_recursion, 0
	.set _Z6kernelI13subtract_leftLj256ELj3ELb1EJPdS1_jEEvDpT3_.has_indirect_call, 0
	.section	.AMDGPU.csdata,"",@progbits
; Kernel info:
; codeLenInByte = 308
; TotalNumSgprs: 10
; NumVgprs: 14
; ScratchSize: 0
; MemoryBound: 0
; FloatMode: 240
; IeeeMode: 1
; LDSByteSize: 4096 bytes/workgroup (compile time only)
; SGPRBlocks: 0
; VGPRBlocks: 1
; NumSGPRsForWavesPerEU: 10
; NumVGPRsForWavesPerEU: 14
; Occupancy: 16
; WaveLimiterHint : 1
; COMPUTE_PGM_RSRC2:SCRATCH_EN: 0
; COMPUTE_PGM_RSRC2:USER_SGPR: 2
; COMPUTE_PGM_RSRC2:TRAP_HANDLER: 0
; COMPUTE_PGM_RSRC2:TGID_X_EN: 1
; COMPUTE_PGM_RSRC2:TGID_Y_EN: 0
; COMPUTE_PGM_RSRC2:TGID_Z_EN: 0
; COMPUTE_PGM_RSRC2:TIDIG_COMP_CNT: 0
	.section	.text._Z6kernelI13subtract_leftLj256ELj4ELb1EJPdS1_jEEvDpT3_,"axG",@progbits,_Z6kernelI13subtract_leftLj256ELj4ELb1EJPdS1_jEEvDpT3_,comdat
	.protected	_Z6kernelI13subtract_leftLj256ELj4ELb1EJPdS1_jEEvDpT3_ ; -- Begin function _Z6kernelI13subtract_leftLj256ELj4ELb1EJPdS1_jEEvDpT3_
	.globl	_Z6kernelI13subtract_leftLj256ELj4ELb1EJPdS1_jEEvDpT3_
	.p2align	8
	.type	_Z6kernelI13subtract_leftLj256ELj4ELb1EJPdS1_jEEvDpT3_,@function
_Z6kernelI13subtract_leftLj256ELj4ELb1EJPdS1_jEEvDpT3_: ; @_Z6kernelI13subtract_leftLj256ELj4ELb1EJPdS1_jEEvDpT3_
; %bb.0:
	s_load_b128 s[4:7], s[0:1], 0x0
	s_lshl_b32 s2, ttmp9, 10
	s_mov_b32 s3, 0
	v_lshlrev_b32_e32 v11, 3, v0
	s_lshl_b64 s[2:3], s[2:3], 3
	s_load_b32 s0, s[0:1], 0x10
	s_wait_kmcnt 0x0
	s_add_nc_u64 s[4:5], s[4:5], s[2:3]
	s_clause 0x3
	global_load_b64 v[7:8], v11, s[4:5]
	global_load_b64 v[5:6], v11, s[4:5] offset:2048
	global_load_b64 v[3:4], v11, s[4:5] offset:4096
	;; [unrolled: 1-line block ×3, first 2 shown]
	s_cmp_eq_u32 s0, 0
	s_cbranch_scc1 .LBB56_5
; %bb.1:
	v_cmp_ne_u32_e32 vcc_lo, 0, v0
	v_add_nc_u32_e32 v0, -8, v11
	s_branch .LBB56_3
.LBB56_2:                               ;   in Loop: Header=BB56_3 Depth=1
	s_or_b32 exec_lo, exec_lo, s1
	s_wait_dscnt 0x0
	v_add_f64_e64 v[9:10], v[7:8], -v[9:10]
	v_add_f64_e64 v[12:13], v[5:6], -v[7:8]
	;; [unrolled: 1-line block ×4, first 2 shown]
	s_add_co_i32 s0, s0, -1
	s_wait_loadcnt 0x0
	s_cmp_lg_u32 s0, 0
	s_barrier_signal -1
	s_barrier_wait -1
	global_inv scope:SCOPE_SE
	v_add_f64_e32 v[7:8], v[7:8], v[9:10]
	v_add_f64_e32 v[5:6], v[5:6], v[12:13]
	;; [unrolled: 1-line block ×4, first 2 shown]
	s_cbranch_scc0 .LBB56_5
.LBB56_3:                               ; =>This Inner Loop Header: Depth=1
	v_mov_b32_e32 v9, 0
	v_mov_b32_e32 v10, 0x405ec000
	s_wait_loadcnt 0x0
	ds_store_b64 v11, v[1:2]
	s_wait_dscnt 0x0
	s_barrier_signal -1
	s_barrier_wait -1
	global_inv scope:SCOPE_SE
	s_and_saveexec_b32 s1, vcc_lo
	s_cbranch_execz .LBB56_2
; %bb.4:                                ;   in Loop: Header=BB56_3 Depth=1
	ds_load_b64 v[9:10], v0
	s_branch .LBB56_2
.LBB56_5:
	s_add_nc_u64 s[0:1], s[6:7], s[2:3]
	s_wait_loadcnt 0x3
	global_store_b64 v11, v[7:8], s[0:1]
	s_wait_loadcnt 0x2
	global_store_b64 v11, v[5:6], s[0:1] offset:2048
	s_wait_loadcnt 0x1
	global_store_b64 v11, v[3:4], s[0:1] offset:4096
	;; [unrolled: 2-line block ×3, first 2 shown]
	s_endpgm
	.section	.rodata,"a",@progbits
	.p2align	6, 0x0
	.amdhsa_kernel _Z6kernelI13subtract_leftLj256ELj4ELb1EJPdS1_jEEvDpT3_
		.amdhsa_group_segment_fixed_size 4096
		.amdhsa_private_segment_fixed_size 0
		.amdhsa_kernarg_size 20
		.amdhsa_user_sgpr_count 2
		.amdhsa_user_sgpr_dispatch_ptr 0
		.amdhsa_user_sgpr_queue_ptr 0
		.amdhsa_user_sgpr_kernarg_segment_ptr 1
		.amdhsa_user_sgpr_dispatch_id 0
		.amdhsa_user_sgpr_private_segment_size 0
		.amdhsa_wavefront_size32 1
		.amdhsa_uses_dynamic_stack 0
		.amdhsa_enable_private_segment 0
		.amdhsa_system_sgpr_workgroup_id_x 1
		.amdhsa_system_sgpr_workgroup_id_y 0
		.amdhsa_system_sgpr_workgroup_id_z 0
		.amdhsa_system_sgpr_workgroup_info 0
		.amdhsa_system_vgpr_workitem_id 0
		.amdhsa_next_free_vgpr 18
		.amdhsa_next_free_sgpr 8
		.amdhsa_reserve_vcc 1
		.amdhsa_float_round_mode_32 0
		.amdhsa_float_round_mode_16_64 0
		.amdhsa_float_denorm_mode_32 3
		.amdhsa_float_denorm_mode_16_64 3
		.amdhsa_fp16_overflow 0
		.amdhsa_workgroup_processor_mode 1
		.amdhsa_memory_ordered 1
		.amdhsa_forward_progress 1
		.amdhsa_inst_pref_size 3
		.amdhsa_round_robin_scheduling 0
		.amdhsa_exception_fp_ieee_invalid_op 0
		.amdhsa_exception_fp_denorm_src 0
		.amdhsa_exception_fp_ieee_div_zero 0
		.amdhsa_exception_fp_ieee_overflow 0
		.amdhsa_exception_fp_ieee_underflow 0
		.amdhsa_exception_fp_ieee_inexact 0
		.amdhsa_exception_int_div_zero 0
	.end_amdhsa_kernel
	.section	.text._Z6kernelI13subtract_leftLj256ELj4ELb1EJPdS1_jEEvDpT3_,"axG",@progbits,_Z6kernelI13subtract_leftLj256ELj4ELb1EJPdS1_jEEvDpT3_,comdat
.Lfunc_end56:
	.size	_Z6kernelI13subtract_leftLj256ELj4ELb1EJPdS1_jEEvDpT3_, .Lfunc_end56-_Z6kernelI13subtract_leftLj256ELj4ELb1EJPdS1_jEEvDpT3_
                                        ; -- End function
	.set _Z6kernelI13subtract_leftLj256ELj4ELb1EJPdS1_jEEvDpT3_.num_vgpr, 18
	.set _Z6kernelI13subtract_leftLj256ELj4ELb1EJPdS1_jEEvDpT3_.num_agpr, 0
	.set _Z6kernelI13subtract_leftLj256ELj4ELb1EJPdS1_jEEvDpT3_.numbered_sgpr, 8
	.set _Z6kernelI13subtract_leftLj256ELj4ELb1EJPdS1_jEEvDpT3_.num_named_barrier, 0
	.set _Z6kernelI13subtract_leftLj256ELj4ELb1EJPdS1_jEEvDpT3_.private_seg_size, 0
	.set _Z6kernelI13subtract_leftLj256ELj4ELb1EJPdS1_jEEvDpT3_.uses_vcc, 1
	.set _Z6kernelI13subtract_leftLj256ELj4ELb1EJPdS1_jEEvDpT3_.uses_flat_scratch, 0
	.set _Z6kernelI13subtract_leftLj256ELj4ELb1EJPdS1_jEEvDpT3_.has_dyn_sized_stack, 0
	.set _Z6kernelI13subtract_leftLj256ELj4ELb1EJPdS1_jEEvDpT3_.has_recursion, 0
	.set _Z6kernelI13subtract_leftLj256ELj4ELb1EJPdS1_jEEvDpT3_.has_indirect_call, 0
	.section	.AMDGPU.csdata,"",@progbits
; Kernel info:
; codeLenInByte = 344
; TotalNumSgprs: 10
; NumVgprs: 18
; ScratchSize: 0
; MemoryBound: 0
; FloatMode: 240
; IeeeMode: 1
; LDSByteSize: 4096 bytes/workgroup (compile time only)
; SGPRBlocks: 0
; VGPRBlocks: 2
; NumSGPRsForWavesPerEU: 10
; NumVGPRsForWavesPerEU: 18
; Occupancy: 16
; WaveLimiterHint : 1
; COMPUTE_PGM_RSRC2:SCRATCH_EN: 0
; COMPUTE_PGM_RSRC2:USER_SGPR: 2
; COMPUTE_PGM_RSRC2:TRAP_HANDLER: 0
; COMPUTE_PGM_RSRC2:TGID_X_EN: 1
; COMPUTE_PGM_RSRC2:TGID_Y_EN: 0
; COMPUTE_PGM_RSRC2:TGID_Z_EN: 0
; COMPUTE_PGM_RSRC2:TIDIG_COMP_CNT: 0
	.section	.text._Z6kernelI13subtract_leftLj256ELj8ELb1EJPdS1_jEEvDpT3_,"axG",@progbits,_Z6kernelI13subtract_leftLj256ELj8ELb1EJPdS1_jEEvDpT3_,comdat
	.protected	_Z6kernelI13subtract_leftLj256ELj8ELb1EJPdS1_jEEvDpT3_ ; -- Begin function _Z6kernelI13subtract_leftLj256ELj8ELb1EJPdS1_jEEvDpT3_
	.globl	_Z6kernelI13subtract_leftLj256ELj8ELb1EJPdS1_jEEvDpT3_
	.p2align	8
	.type	_Z6kernelI13subtract_leftLj256ELj8ELb1EJPdS1_jEEvDpT3_,@function
_Z6kernelI13subtract_leftLj256ELj8ELb1EJPdS1_jEEvDpT3_: ; @_Z6kernelI13subtract_leftLj256ELj8ELb1EJPdS1_jEEvDpT3_
; %bb.0:
	s_load_b128 s[4:7], s[0:1], 0x0
	s_lshl_b32 s2, ttmp9, 11
	s_mov_b32 s3, 0
	v_lshlrev_b32_e32 v19, 3, v0
	s_lshl_b64 s[2:3], s[2:3], 3
	s_load_b32 s0, s[0:1], 0x10
	s_wait_kmcnt 0x0
	s_add_nc_u64 s[4:5], s[4:5], s[2:3]
	s_clause 0x7
	global_load_b64 v[15:16], v19, s[4:5]
	global_load_b64 v[13:14], v19, s[4:5] offset:2048
	global_load_b64 v[11:12], v19, s[4:5] offset:4096
	;; [unrolled: 1-line block ×7, first 2 shown]
	s_cmp_eq_u32 s0, 0
	s_cbranch_scc1 .LBB57_5
; %bb.1:
	v_cmp_ne_u32_e32 vcc_lo, 0, v0
	v_add_nc_u32_e32 v0, -8, v19
	s_branch .LBB57_3
.LBB57_2:                               ;   in Loop: Header=BB57_3 Depth=1
	s_or_b32 exec_lo, exec_lo, s1
	s_wait_dscnt 0x0
	v_add_f64_e64 v[17:18], v[15:16], -v[17:18]
	v_add_f64_e64 v[20:21], v[13:14], -v[15:16]
	;; [unrolled: 1-line block ×8, first 2 shown]
	s_add_co_i32 s0, s0, -1
	s_wait_loadcnt 0x0
	s_cmp_lg_u32 s0, 0
	s_barrier_signal -1
	s_barrier_wait -1
	global_inv scope:SCOPE_SE
	v_add_f64_e32 v[15:16], v[15:16], v[17:18]
	v_add_f64_e32 v[13:14], v[13:14], v[20:21]
	;; [unrolled: 1-line block ×8, first 2 shown]
	s_cbranch_scc0 .LBB57_5
.LBB57_3:                               ; =>This Inner Loop Header: Depth=1
	v_mov_b32_e32 v17, 0
	v_mov_b32_e32 v18, 0x405ec000
	s_wait_loadcnt 0x0
	ds_store_b64 v19, v[1:2]
	s_wait_dscnt 0x0
	s_barrier_signal -1
	s_barrier_wait -1
	global_inv scope:SCOPE_SE
	s_and_saveexec_b32 s1, vcc_lo
	s_cbranch_execz .LBB57_2
; %bb.4:                                ;   in Loop: Header=BB57_3 Depth=1
	ds_load_b64 v[17:18], v0
	s_branch .LBB57_2
.LBB57_5:
	s_add_nc_u64 s[0:1], s[6:7], s[2:3]
	s_wait_loadcnt 0x7
	global_store_b64 v19, v[15:16], s[0:1]
	s_wait_loadcnt 0x6
	global_store_b64 v19, v[13:14], s[0:1] offset:2048
	s_wait_loadcnt 0x5
	global_store_b64 v19, v[11:12], s[0:1] offset:4096
	;; [unrolled: 2-line block ×7, first 2 shown]
	s_endpgm
	.section	.rodata,"a",@progbits
	.p2align	6, 0x0
	.amdhsa_kernel _Z6kernelI13subtract_leftLj256ELj8ELb1EJPdS1_jEEvDpT3_
		.amdhsa_group_segment_fixed_size 4096
		.amdhsa_private_segment_fixed_size 0
		.amdhsa_kernarg_size 20
		.amdhsa_user_sgpr_count 2
		.amdhsa_user_sgpr_dispatch_ptr 0
		.amdhsa_user_sgpr_queue_ptr 0
		.amdhsa_user_sgpr_kernarg_segment_ptr 1
		.amdhsa_user_sgpr_dispatch_id 0
		.amdhsa_user_sgpr_private_segment_size 0
		.amdhsa_wavefront_size32 1
		.amdhsa_uses_dynamic_stack 0
		.amdhsa_enable_private_segment 0
		.amdhsa_system_sgpr_workgroup_id_x 1
		.amdhsa_system_sgpr_workgroup_id_y 0
		.amdhsa_system_sgpr_workgroup_id_z 0
		.amdhsa_system_sgpr_workgroup_info 0
		.amdhsa_system_vgpr_workitem_id 0
		.amdhsa_next_free_vgpr 34
		.amdhsa_next_free_sgpr 8
		.amdhsa_reserve_vcc 1
		.amdhsa_float_round_mode_32 0
		.amdhsa_float_round_mode_16_64 0
		.amdhsa_float_denorm_mode_32 3
		.amdhsa_float_denorm_mode_16_64 3
		.amdhsa_fp16_overflow 0
		.amdhsa_workgroup_processor_mode 1
		.amdhsa_memory_ordered 1
		.amdhsa_forward_progress 1
		.amdhsa_inst_pref_size 4
		.amdhsa_round_robin_scheduling 0
		.amdhsa_exception_fp_ieee_invalid_op 0
		.amdhsa_exception_fp_denorm_src 0
		.amdhsa_exception_fp_ieee_div_zero 0
		.amdhsa_exception_fp_ieee_overflow 0
		.amdhsa_exception_fp_ieee_underflow 0
		.amdhsa_exception_fp_ieee_inexact 0
		.amdhsa_exception_int_div_zero 0
	.end_amdhsa_kernel
	.section	.text._Z6kernelI13subtract_leftLj256ELj8ELb1EJPdS1_jEEvDpT3_,"axG",@progbits,_Z6kernelI13subtract_leftLj256ELj8ELb1EJPdS1_jEEvDpT3_,comdat
.Lfunc_end57:
	.size	_Z6kernelI13subtract_leftLj256ELj8ELb1EJPdS1_jEEvDpT3_, .Lfunc_end57-_Z6kernelI13subtract_leftLj256ELj8ELb1EJPdS1_jEEvDpT3_
                                        ; -- End function
	.set _Z6kernelI13subtract_leftLj256ELj8ELb1EJPdS1_jEEvDpT3_.num_vgpr, 34
	.set _Z6kernelI13subtract_leftLj256ELj8ELb1EJPdS1_jEEvDpT3_.num_agpr, 0
	.set _Z6kernelI13subtract_leftLj256ELj8ELb1EJPdS1_jEEvDpT3_.numbered_sgpr, 8
	.set _Z6kernelI13subtract_leftLj256ELj8ELb1EJPdS1_jEEvDpT3_.num_named_barrier, 0
	.set _Z6kernelI13subtract_leftLj256ELj8ELb1EJPdS1_jEEvDpT3_.private_seg_size, 0
	.set _Z6kernelI13subtract_leftLj256ELj8ELb1EJPdS1_jEEvDpT3_.uses_vcc, 1
	.set _Z6kernelI13subtract_leftLj256ELj8ELb1EJPdS1_jEEvDpT3_.uses_flat_scratch, 0
	.set _Z6kernelI13subtract_leftLj256ELj8ELb1EJPdS1_jEEvDpT3_.has_dyn_sized_stack, 0
	.set _Z6kernelI13subtract_leftLj256ELj8ELb1EJPdS1_jEEvDpT3_.has_recursion, 0
	.set _Z6kernelI13subtract_leftLj256ELj8ELb1EJPdS1_jEEvDpT3_.has_indirect_call, 0
	.section	.AMDGPU.csdata,"",@progbits
; Kernel info:
; codeLenInByte = 504
; TotalNumSgprs: 10
; NumVgprs: 34
; ScratchSize: 0
; MemoryBound: 0
; FloatMode: 240
; IeeeMode: 1
; LDSByteSize: 4096 bytes/workgroup (compile time only)
; SGPRBlocks: 0
; VGPRBlocks: 4
; NumSGPRsForWavesPerEU: 10
; NumVGPRsForWavesPerEU: 34
; Occupancy: 16
; WaveLimiterHint : 1
; COMPUTE_PGM_RSRC2:SCRATCH_EN: 0
; COMPUTE_PGM_RSRC2:USER_SGPR: 2
; COMPUTE_PGM_RSRC2:TRAP_HANDLER: 0
; COMPUTE_PGM_RSRC2:TGID_X_EN: 1
; COMPUTE_PGM_RSRC2:TGID_Y_EN: 0
; COMPUTE_PGM_RSRC2:TGID_Z_EN: 0
; COMPUTE_PGM_RSRC2:TIDIG_COMP_CNT: 0
	.section	.text._Z6kernelI13subtract_leftLj256ELj16ELb1EJPdS1_jEEvDpT3_,"axG",@progbits,_Z6kernelI13subtract_leftLj256ELj16ELb1EJPdS1_jEEvDpT3_,comdat
	.protected	_Z6kernelI13subtract_leftLj256ELj16ELb1EJPdS1_jEEvDpT3_ ; -- Begin function _Z6kernelI13subtract_leftLj256ELj16ELb1EJPdS1_jEEvDpT3_
	.globl	_Z6kernelI13subtract_leftLj256ELj16ELb1EJPdS1_jEEvDpT3_
	.p2align	8
	.type	_Z6kernelI13subtract_leftLj256ELj16ELb1EJPdS1_jEEvDpT3_,@function
_Z6kernelI13subtract_leftLj256ELj16ELb1EJPdS1_jEEvDpT3_: ; @_Z6kernelI13subtract_leftLj256ELj16ELb1EJPdS1_jEEvDpT3_
; %bb.0:
	s_load_b128 s[4:7], s[0:1], 0x0
	s_lshl_b32 s2, ttmp9, 12
	s_mov_b32 s3, 0
	v_lshlrev_b32_e32 v35, 3, v0
	s_lshl_b64 s[2:3], s[2:3], 3
	s_load_b32 s0, s[0:1], 0x10
	s_wait_kmcnt 0x0
	s_add_nc_u64 s[4:5], s[4:5], s[2:3]
	s_clause 0xf
	global_load_b64 v[31:32], v35, s[4:5]
	global_load_b64 v[29:30], v35, s[4:5] offset:2048
	global_load_b64 v[27:28], v35, s[4:5] offset:4096
	;; [unrolled: 1-line block ×15, first 2 shown]
	s_cmp_eq_u32 s0, 0
	s_cbranch_scc1 .LBB58_5
; %bb.1:
	v_cmp_ne_u32_e32 vcc_lo, 0, v0
	v_add_nc_u32_e32 v0, -8, v35
	s_branch .LBB58_3
.LBB58_2:                               ;   in Loop: Header=BB58_3 Depth=1
	s_or_b32 exec_lo, exec_lo, s1
	s_wait_dscnt 0x0
	v_add_f64_e64 v[33:34], v[31:32], -v[33:34]
	v_add_f64_e64 v[36:37], v[29:30], -v[31:32]
	;; [unrolled: 1-line block ×16, first 2 shown]
	s_add_co_i32 s0, s0, -1
	s_wait_loadcnt 0x0
	s_cmp_lg_u32 s0, 0
	s_barrier_signal -1
	s_barrier_wait -1
	global_inv scope:SCOPE_SE
	v_add_f64_e32 v[31:32], v[31:32], v[33:34]
	v_add_f64_e32 v[29:30], v[29:30], v[36:37]
	;; [unrolled: 1-line block ×16, first 2 shown]
	s_cbranch_scc0 .LBB58_5
.LBB58_3:                               ; =>This Inner Loop Header: Depth=1
	v_mov_b32_e32 v33, 0
	v_mov_b32_e32 v34, 0x405ec000
	s_wait_loadcnt 0x0
	ds_store_b64 v35, v[1:2]
	s_wait_dscnt 0x0
	s_barrier_signal -1
	s_barrier_wait -1
	global_inv scope:SCOPE_SE
	s_and_saveexec_b32 s1, vcc_lo
	s_cbranch_execz .LBB58_2
; %bb.4:                                ;   in Loop: Header=BB58_3 Depth=1
	ds_load_b64 v[33:34], v0
	s_branch .LBB58_2
.LBB58_5:
	s_add_nc_u64 s[0:1], s[6:7], s[2:3]
	s_wait_loadcnt 0xf
	global_store_b64 v35, v[31:32], s[0:1]
	s_wait_loadcnt 0xe
	global_store_b64 v35, v[29:30], s[0:1] offset:2048
	s_wait_loadcnt 0xd
	global_store_b64 v35, v[27:28], s[0:1] offset:4096
	;; [unrolled: 2-line block ×15, first 2 shown]
	s_endpgm
	.section	.rodata,"a",@progbits
	.p2align	6, 0x0
	.amdhsa_kernel _Z6kernelI13subtract_leftLj256ELj16ELb1EJPdS1_jEEvDpT3_
		.amdhsa_group_segment_fixed_size 4096
		.amdhsa_private_segment_fixed_size 0
		.amdhsa_kernarg_size 20
		.amdhsa_user_sgpr_count 2
		.amdhsa_user_sgpr_dispatch_ptr 0
		.amdhsa_user_sgpr_queue_ptr 0
		.amdhsa_user_sgpr_kernarg_segment_ptr 1
		.amdhsa_user_sgpr_dispatch_id 0
		.amdhsa_user_sgpr_private_segment_size 0
		.amdhsa_wavefront_size32 1
		.amdhsa_uses_dynamic_stack 0
		.amdhsa_enable_private_segment 0
		.amdhsa_system_sgpr_workgroup_id_x 1
		.amdhsa_system_sgpr_workgroup_id_y 0
		.amdhsa_system_sgpr_workgroup_id_z 0
		.amdhsa_system_sgpr_workgroup_info 0
		.amdhsa_system_vgpr_workitem_id 0
		.amdhsa_next_free_vgpr 66
		.amdhsa_next_free_sgpr 8
		.amdhsa_reserve_vcc 1
		.amdhsa_float_round_mode_32 0
		.amdhsa_float_round_mode_16_64 0
		.amdhsa_float_denorm_mode_32 3
		.amdhsa_float_denorm_mode_16_64 3
		.amdhsa_fp16_overflow 0
		.amdhsa_workgroup_processor_mode 1
		.amdhsa_memory_ordered 1
		.amdhsa_forward_progress 1
		.amdhsa_inst_pref_size 7
		.amdhsa_round_robin_scheduling 0
		.amdhsa_exception_fp_ieee_invalid_op 0
		.amdhsa_exception_fp_denorm_src 0
		.amdhsa_exception_fp_ieee_div_zero 0
		.amdhsa_exception_fp_ieee_overflow 0
		.amdhsa_exception_fp_ieee_underflow 0
		.amdhsa_exception_fp_ieee_inexact 0
		.amdhsa_exception_int_div_zero 0
	.end_amdhsa_kernel
	.section	.text._Z6kernelI13subtract_leftLj256ELj16ELb1EJPdS1_jEEvDpT3_,"axG",@progbits,_Z6kernelI13subtract_leftLj256ELj16ELb1EJPdS1_jEEvDpT3_,comdat
.Lfunc_end58:
	.size	_Z6kernelI13subtract_leftLj256ELj16ELb1EJPdS1_jEEvDpT3_, .Lfunc_end58-_Z6kernelI13subtract_leftLj256ELj16ELb1EJPdS1_jEEvDpT3_
                                        ; -- End function
	.set _Z6kernelI13subtract_leftLj256ELj16ELb1EJPdS1_jEEvDpT3_.num_vgpr, 66
	.set _Z6kernelI13subtract_leftLj256ELj16ELb1EJPdS1_jEEvDpT3_.num_agpr, 0
	.set _Z6kernelI13subtract_leftLj256ELj16ELb1EJPdS1_jEEvDpT3_.numbered_sgpr, 8
	.set _Z6kernelI13subtract_leftLj256ELj16ELb1EJPdS1_jEEvDpT3_.num_named_barrier, 0
	.set _Z6kernelI13subtract_leftLj256ELj16ELb1EJPdS1_jEEvDpT3_.private_seg_size, 0
	.set _Z6kernelI13subtract_leftLj256ELj16ELb1EJPdS1_jEEvDpT3_.uses_vcc, 1
	.set _Z6kernelI13subtract_leftLj256ELj16ELb1EJPdS1_jEEvDpT3_.uses_flat_scratch, 0
	.set _Z6kernelI13subtract_leftLj256ELj16ELb1EJPdS1_jEEvDpT3_.has_dyn_sized_stack, 0
	.set _Z6kernelI13subtract_leftLj256ELj16ELb1EJPdS1_jEEvDpT3_.has_recursion, 0
	.set _Z6kernelI13subtract_leftLj256ELj16ELb1EJPdS1_jEEvDpT3_.has_indirect_call, 0
	.section	.AMDGPU.csdata,"",@progbits
; Kernel info:
; codeLenInByte = 824
; TotalNumSgprs: 10
; NumVgprs: 66
; ScratchSize: 0
; MemoryBound: 0
; FloatMode: 240
; IeeeMode: 1
; LDSByteSize: 4096 bytes/workgroup (compile time only)
; SGPRBlocks: 0
; VGPRBlocks: 8
; NumSGPRsForWavesPerEU: 10
; NumVGPRsForWavesPerEU: 66
; Occupancy: 16
; WaveLimiterHint : 1
; COMPUTE_PGM_RSRC2:SCRATCH_EN: 0
; COMPUTE_PGM_RSRC2:USER_SGPR: 2
; COMPUTE_PGM_RSRC2:TRAP_HANDLER: 0
; COMPUTE_PGM_RSRC2:TGID_X_EN: 1
; COMPUTE_PGM_RSRC2:TGID_Y_EN: 0
; COMPUTE_PGM_RSRC2:TGID_Z_EN: 0
; COMPUTE_PGM_RSRC2:TIDIG_COMP_CNT: 0
	.section	.text._Z6kernelI13subtract_leftLj256ELj32ELb1EJPdS1_jEEvDpT3_,"axG",@progbits,_Z6kernelI13subtract_leftLj256ELj32ELb1EJPdS1_jEEvDpT3_,comdat
	.protected	_Z6kernelI13subtract_leftLj256ELj32ELb1EJPdS1_jEEvDpT3_ ; -- Begin function _Z6kernelI13subtract_leftLj256ELj32ELb1EJPdS1_jEEvDpT3_
	.globl	_Z6kernelI13subtract_leftLj256ELj32ELb1EJPdS1_jEEvDpT3_
	.p2align	8
	.type	_Z6kernelI13subtract_leftLj256ELj32ELb1EJPdS1_jEEvDpT3_,@function
_Z6kernelI13subtract_leftLj256ELj32ELb1EJPdS1_jEEvDpT3_: ; @_Z6kernelI13subtract_leftLj256ELj32ELb1EJPdS1_jEEvDpT3_
; %bb.0:
	s_load_b128 s[4:7], s[0:1], 0x0
	s_lshl_b32 s2, ttmp9, 13
	s_mov_b32 s3, 0
	v_lshlrev_b32_e32 v67, 3, v0
	s_lshl_b64 s[2:3], s[2:3], 3
	s_load_b32 s0, s[0:1], 0x10
	s_wait_kmcnt 0x0
	s_add_nc_u64 s[4:5], s[4:5], s[2:3]
	s_clause 0x1f
	global_load_b64 v[63:64], v67, s[4:5]
	global_load_b64 v[61:62], v67, s[4:5] offset:2048
	global_load_b64 v[59:60], v67, s[4:5] offset:4096
	;; [unrolled: 1-line block ×31, first 2 shown]
	s_cmp_eq_u32 s0, 0
	s_cbranch_scc1 .LBB59_5
; %bb.1:
	v_cmp_ne_u32_e32 vcc_lo, 0, v0
	v_add_nc_u32_e32 v0, -8, v67
	s_branch .LBB59_3
.LBB59_2:                               ;   in Loop: Header=BB59_3 Depth=1
	s_or_b32 exec_lo, exec_lo, s1
	s_wait_dscnt 0x0
	v_add_f64_e64 v[65:66], v[63:64], -v[65:66]
	v_add_f64_e64 v[68:69], v[61:62], -v[63:64]
	v_add_f64_e64 v[70:71], v[59:60], -v[61:62]
	v_add_f64_e64 v[72:73], v[57:58], -v[59:60]
	v_add_f64_e64 v[74:75], v[55:56], -v[57:58]
	v_add_f64_e64 v[76:77], v[53:54], -v[55:56]
	v_add_f64_e64 v[78:79], v[51:52], -v[53:54]
	v_add_f64_e64 v[80:81], v[49:50], -v[51:52]
	v_add_f64_e64 v[82:83], v[47:48], -v[49:50]
	v_add_f64_e64 v[84:85], v[45:46], -v[47:48]
	v_add_f64_e64 v[86:87], v[43:44], -v[45:46]
	v_add_f64_e64 v[88:89], v[41:42], -v[43:44]
	v_add_f64_e64 v[90:91], v[39:40], -v[41:42]
	v_add_f64_e64 v[92:93], v[37:38], -v[39:40]
	s_add_co_i32 s0, s0, -1
	s_wait_loadcnt 0x0
	s_cmp_lg_u32 s0, 0
	s_barrier_signal -1
	s_barrier_wait -1
	global_inv scope:SCOPE_SE
	v_add_f64_e32 v[63:64], v[63:64], v[65:66]
	v_add_f64_e64 v[65:66], v[35:36], -v[37:38]
	v_add_f64_e32 v[61:62], v[61:62], v[68:69]
	v_add_f64_e64 v[68:69], v[33:34], -v[35:36]
	;; [unrolled: 2-line block ×18, first 2 shown]
	v_add_f64_e32 v[3:4], v[3:4], v[74:75]
	v_add_f64_e32 v[7:8], v[7:8], v[76:77]
	;; [unrolled: 1-line block ×14, first 2 shown]
	s_cbranch_scc0 .LBB59_5
.LBB59_3:                               ; =>This Inner Loop Header: Depth=1
	v_mov_b32_e32 v65, 0
	v_mov_b32_e32 v66, 0x405ec000
	s_wait_loadcnt 0x0
	ds_store_b64 v67, v[1:2]
	s_wait_dscnt 0x0
	s_barrier_signal -1
	s_barrier_wait -1
	global_inv scope:SCOPE_SE
	s_and_saveexec_b32 s1, vcc_lo
	s_cbranch_execz .LBB59_2
; %bb.4:                                ;   in Loop: Header=BB59_3 Depth=1
	ds_load_b64 v[65:66], v0
	s_branch .LBB59_2
.LBB59_5:
	s_add_nc_u64 s[0:1], s[6:7], s[2:3]
	s_wait_loadcnt 0x1f
	global_store_b64 v67, v[63:64], s[0:1]
	s_wait_loadcnt 0x1e
	global_store_b64 v67, v[61:62], s[0:1] offset:2048
	s_wait_loadcnt 0x1d
	global_store_b64 v67, v[59:60], s[0:1] offset:4096
	;; [unrolled: 2-line block ×31, first 2 shown]
	s_endpgm
	.section	.rodata,"a",@progbits
	.p2align	6, 0x0
	.amdhsa_kernel _Z6kernelI13subtract_leftLj256ELj32ELb1EJPdS1_jEEvDpT3_
		.amdhsa_group_segment_fixed_size 4096
		.amdhsa_private_segment_fixed_size 0
		.amdhsa_kernarg_size 20
		.amdhsa_user_sgpr_count 2
		.amdhsa_user_sgpr_dispatch_ptr 0
		.amdhsa_user_sgpr_queue_ptr 0
		.amdhsa_user_sgpr_kernarg_segment_ptr 1
		.amdhsa_user_sgpr_dispatch_id 0
		.amdhsa_user_sgpr_private_segment_size 0
		.amdhsa_wavefront_size32 1
		.amdhsa_uses_dynamic_stack 0
		.amdhsa_enable_private_segment 0
		.amdhsa_system_sgpr_workgroup_id_x 1
		.amdhsa_system_sgpr_workgroup_id_y 0
		.amdhsa_system_sgpr_workgroup_id_z 0
		.amdhsa_system_sgpr_workgroup_info 0
		.amdhsa_system_vgpr_workitem_id 0
		.amdhsa_next_free_vgpr 94
		.amdhsa_next_free_sgpr 8
		.amdhsa_reserve_vcc 1
		.amdhsa_float_round_mode_32 0
		.amdhsa_float_round_mode_16_64 0
		.amdhsa_float_denorm_mode_32 3
		.amdhsa_float_denorm_mode_16_64 3
		.amdhsa_fp16_overflow 0
		.amdhsa_workgroup_processor_mode 1
		.amdhsa_memory_ordered 1
		.amdhsa_forward_progress 1
		.amdhsa_inst_pref_size 12
		.amdhsa_round_robin_scheduling 0
		.amdhsa_exception_fp_ieee_invalid_op 0
		.amdhsa_exception_fp_denorm_src 0
		.amdhsa_exception_fp_ieee_div_zero 0
		.amdhsa_exception_fp_ieee_overflow 0
		.amdhsa_exception_fp_ieee_underflow 0
		.amdhsa_exception_fp_ieee_inexact 0
		.amdhsa_exception_int_div_zero 0
	.end_amdhsa_kernel
	.section	.text._Z6kernelI13subtract_leftLj256ELj32ELb1EJPdS1_jEEvDpT3_,"axG",@progbits,_Z6kernelI13subtract_leftLj256ELj32ELb1EJPdS1_jEEvDpT3_,comdat
.Lfunc_end59:
	.size	_Z6kernelI13subtract_leftLj256ELj32ELb1EJPdS1_jEEvDpT3_, .Lfunc_end59-_Z6kernelI13subtract_leftLj256ELj32ELb1EJPdS1_jEEvDpT3_
                                        ; -- End function
	.set _Z6kernelI13subtract_leftLj256ELj32ELb1EJPdS1_jEEvDpT3_.num_vgpr, 94
	.set _Z6kernelI13subtract_leftLj256ELj32ELb1EJPdS1_jEEvDpT3_.num_agpr, 0
	.set _Z6kernelI13subtract_leftLj256ELj32ELb1EJPdS1_jEEvDpT3_.numbered_sgpr, 8
	.set _Z6kernelI13subtract_leftLj256ELj32ELb1EJPdS1_jEEvDpT3_.num_named_barrier, 0
	.set _Z6kernelI13subtract_leftLj256ELj32ELb1EJPdS1_jEEvDpT3_.private_seg_size, 0
	.set _Z6kernelI13subtract_leftLj256ELj32ELb1EJPdS1_jEEvDpT3_.uses_vcc, 1
	.set _Z6kernelI13subtract_leftLj256ELj32ELb1EJPdS1_jEEvDpT3_.uses_flat_scratch, 0
	.set _Z6kernelI13subtract_leftLj256ELj32ELb1EJPdS1_jEEvDpT3_.has_dyn_sized_stack, 0
	.set _Z6kernelI13subtract_leftLj256ELj32ELb1EJPdS1_jEEvDpT3_.has_recursion, 0
	.set _Z6kernelI13subtract_leftLj256ELj32ELb1EJPdS1_jEEvDpT3_.has_indirect_call, 0
	.section	.AMDGPU.csdata,"",@progbits
; Kernel info:
; codeLenInByte = 1464
; TotalNumSgprs: 10
; NumVgprs: 94
; ScratchSize: 0
; MemoryBound: 0
; FloatMode: 240
; IeeeMode: 1
; LDSByteSize: 4096 bytes/workgroup (compile time only)
; SGPRBlocks: 0
; VGPRBlocks: 11
; NumSGPRsForWavesPerEU: 10
; NumVGPRsForWavesPerEU: 94
; Occupancy: 16
; WaveLimiterHint : 1
; COMPUTE_PGM_RSRC2:SCRATCH_EN: 0
; COMPUTE_PGM_RSRC2:USER_SGPR: 2
; COMPUTE_PGM_RSRC2:TRAP_HANDLER: 0
; COMPUTE_PGM_RSRC2:TGID_X_EN: 1
; COMPUTE_PGM_RSRC2:TGID_Y_EN: 0
; COMPUTE_PGM_RSRC2:TGID_Z_EN: 0
; COMPUTE_PGM_RSRC2:TIDIG_COMP_CNT: 0
	.section	.text._Z6kernelI14subtract_rightLj256ELj1ELb0EJPiS1_jEEvDpT3_,"axG",@progbits,_Z6kernelI14subtract_rightLj256ELj1ELb0EJPiS1_jEEvDpT3_,comdat
	.protected	_Z6kernelI14subtract_rightLj256ELj1ELb0EJPiS1_jEEvDpT3_ ; -- Begin function _Z6kernelI14subtract_rightLj256ELj1ELb0EJPiS1_jEEvDpT3_
	.globl	_Z6kernelI14subtract_rightLj256ELj1ELb0EJPiS1_jEEvDpT3_
	.p2align	8
	.type	_Z6kernelI14subtract_rightLj256ELj1ELb0EJPiS1_jEEvDpT3_,@function
_Z6kernelI14subtract_rightLj256ELj1ELb0EJPiS1_jEEvDpT3_: ; @_Z6kernelI14subtract_rightLj256ELj1ELb0EJPiS1_jEEvDpT3_
; %bb.0:
	s_load_b128 s[4:7], s[0:1], 0x0
	s_lshl_b32 s2, ttmp9, 8
	s_mov_b32 s3, 0
	v_lshlrev_b32_e32 v1, 2, v0
	s_lshl_b64 s[2:3], s[2:3], 2
	s_load_b32 s0, s[0:1], 0x10
	s_wait_kmcnt 0x0
	s_add_nc_u64 s[4:5], s[4:5], s[2:3]
	global_load_b32 v2, v1, s[4:5]
	s_cmp_eq_u32 s0, 0
	s_cbranch_scc1 .LBB60_5
; %bb.1:
	v_cmp_ne_u32_e32 vcc_lo, 0xff, v0
	s_branch .LBB60_3
.LBB60_2:                               ;   in Loop: Header=BB60_3 Depth=1
	s_or_b32 exec_lo, exec_lo, s1
	s_delay_alu instid0(VALU_DEP_1)
	v_add_nc_u32_e32 v2, v0, v2
	s_add_co_i32 s0, s0, -1
	s_wait_loadcnt 0x0
	s_cmp_lg_u32 s0, 0
	s_barrier_signal -1
	s_barrier_wait -1
	global_inv scope:SCOPE_SE
	s_cbranch_scc0 .LBB60_5
.LBB60_3:                               ; =>This Inner Loop Header: Depth=1
	s_wait_loadcnt 0x0
	v_mov_b32_e32 v0, v2
	ds_store_b32 v1, v2 offset:1024
	s_wait_dscnt 0x0
	s_barrier_signal -1
	s_barrier_wait -1
	global_inv scope:SCOPE_SE
	s_and_saveexec_b32 s1, vcc_lo
	s_cbranch_execz .LBB60_2
; %bb.4:                                ;   in Loop: Header=BB60_3 Depth=1
	ds_load_b32 v0, v1 offset:1028
	s_wait_dscnt 0x0
	v_sub_nc_u32_e32 v0, v2, v0
	s_branch .LBB60_2
.LBB60_5:
	s_add_nc_u64 s[0:1], s[6:7], s[2:3]
	s_wait_loadcnt 0x0
	global_store_b32 v1, v2, s[0:1]
	s_endpgm
	.section	.rodata,"a",@progbits
	.p2align	6, 0x0
	.amdhsa_kernel _Z6kernelI14subtract_rightLj256ELj1ELb0EJPiS1_jEEvDpT3_
		.amdhsa_group_segment_fixed_size 2048
		.amdhsa_private_segment_fixed_size 0
		.amdhsa_kernarg_size 20
		.amdhsa_user_sgpr_count 2
		.amdhsa_user_sgpr_dispatch_ptr 0
		.amdhsa_user_sgpr_queue_ptr 0
		.amdhsa_user_sgpr_kernarg_segment_ptr 1
		.amdhsa_user_sgpr_dispatch_id 0
		.amdhsa_user_sgpr_private_segment_size 0
		.amdhsa_wavefront_size32 1
		.amdhsa_uses_dynamic_stack 0
		.amdhsa_enable_private_segment 0
		.amdhsa_system_sgpr_workgroup_id_x 1
		.amdhsa_system_sgpr_workgroup_id_y 0
		.amdhsa_system_sgpr_workgroup_id_z 0
		.amdhsa_system_sgpr_workgroup_info 0
		.amdhsa_system_vgpr_workitem_id 0
		.amdhsa_next_free_vgpr 3
		.amdhsa_next_free_sgpr 8
		.amdhsa_reserve_vcc 1
		.amdhsa_float_round_mode_32 0
		.amdhsa_float_round_mode_16_64 0
		.amdhsa_float_denorm_mode_32 3
		.amdhsa_float_denorm_mode_16_64 3
		.amdhsa_fp16_overflow 0
		.amdhsa_workgroup_processor_mode 1
		.amdhsa_memory_ordered 1
		.amdhsa_forward_progress 1
		.amdhsa_inst_pref_size 2
		.amdhsa_round_robin_scheduling 0
		.amdhsa_exception_fp_ieee_invalid_op 0
		.amdhsa_exception_fp_denorm_src 0
		.amdhsa_exception_fp_ieee_div_zero 0
		.amdhsa_exception_fp_ieee_overflow 0
		.amdhsa_exception_fp_ieee_underflow 0
		.amdhsa_exception_fp_ieee_inexact 0
		.amdhsa_exception_int_div_zero 0
	.end_amdhsa_kernel
	.section	.text._Z6kernelI14subtract_rightLj256ELj1ELb0EJPiS1_jEEvDpT3_,"axG",@progbits,_Z6kernelI14subtract_rightLj256ELj1ELb0EJPiS1_jEEvDpT3_,comdat
.Lfunc_end60:
	.size	_Z6kernelI14subtract_rightLj256ELj1ELb0EJPiS1_jEEvDpT3_, .Lfunc_end60-_Z6kernelI14subtract_rightLj256ELj1ELb0EJPiS1_jEEvDpT3_
                                        ; -- End function
	.set _Z6kernelI14subtract_rightLj256ELj1ELb0EJPiS1_jEEvDpT3_.num_vgpr, 3
	.set _Z6kernelI14subtract_rightLj256ELj1ELb0EJPiS1_jEEvDpT3_.num_agpr, 0
	.set _Z6kernelI14subtract_rightLj256ELj1ELb0EJPiS1_jEEvDpT3_.numbered_sgpr, 8
	.set _Z6kernelI14subtract_rightLj256ELj1ELb0EJPiS1_jEEvDpT3_.num_named_barrier, 0
	.set _Z6kernelI14subtract_rightLj256ELj1ELb0EJPiS1_jEEvDpT3_.private_seg_size, 0
	.set _Z6kernelI14subtract_rightLj256ELj1ELb0EJPiS1_jEEvDpT3_.uses_vcc, 1
	.set _Z6kernelI14subtract_rightLj256ELj1ELb0EJPiS1_jEEvDpT3_.uses_flat_scratch, 0
	.set _Z6kernelI14subtract_rightLj256ELj1ELb0EJPiS1_jEEvDpT3_.has_dyn_sized_stack, 0
	.set _Z6kernelI14subtract_rightLj256ELj1ELb0EJPiS1_jEEvDpT3_.has_recursion, 0
	.set _Z6kernelI14subtract_rightLj256ELj1ELb0EJPiS1_jEEvDpT3_.has_indirect_call, 0
	.section	.AMDGPU.csdata,"",@progbits
; Kernel info:
; codeLenInByte = 212
; TotalNumSgprs: 10
; NumVgprs: 3
; ScratchSize: 0
; MemoryBound: 0
; FloatMode: 240
; IeeeMode: 1
; LDSByteSize: 2048 bytes/workgroup (compile time only)
; SGPRBlocks: 0
; VGPRBlocks: 0
; NumSGPRsForWavesPerEU: 10
; NumVGPRsForWavesPerEU: 3
; Occupancy: 16
; WaveLimiterHint : 0
; COMPUTE_PGM_RSRC2:SCRATCH_EN: 0
; COMPUTE_PGM_RSRC2:USER_SGPR: 2
; COMPUTE_PGM_RSRC2:TRAP_HANDLER: 0
; COMPUTE_PGM_RSRC2:TGID_X_EN: 1
; COMPUTE_PGM_RSRC2:TGID_Y_EN: 0
; COMPUTE_PGM_RSRC2:TGID_Z_EN: 0
; COMPUTE_PGM_RSRC2:TIDIG_COMP_CNT: 0
	.section	.text._Z6kernelI14subtract_rightLj256ELj3ELb0EJPiS1_jEEvDpT3_,"axG",@progbits,_Z6kernelI14subtract_rightLj256ELj3ELb0EJPiS1_jEEvDpT3_,comdat
	.protected	_Z6kernelI14subtract_rightLj256ELj3ELb0EJPiS1_jEEvDpT3_ ; -- Begin function _Z6kernelI14subtract_rightLj256ELj3ELb0EJPiS1_jEEvDpT3_
	.globl	_Z6kernelI14subtract_rightLj256ELj3ELb0EJPiS1_jEEvDpT3_
	.p2align	8
	.type	_Z6kernelI14subtract_rightLj256ELj3ELb0EJPiS1_jEEvDpT3_,@function
_Z6kernelI14subtract_rightLj256ELj3ELb0EJPiS1_jEEvDpT3_: ; @_Z6kernelI14subtract_rightLj256ELj3ELb0EJPiS1_jEEvDpT3_
; %bb.0:
	s_load_b128 s[4:7], s[0:1], 0x0
	s_mul_i32 s2, ttmp9, 0x300
	s_mov_b32 s3, 0
	v_lshlrev_b32_e32 v1, 2, v0
	s_lshl_b64 s[2:3], s[2:3], 2
	s_load_b32 s0, s[0:1], 0x10
	s_wait_kmcnt 0x0
	s_add_nc_u64 s[4:5], s[4:5], s[2:3]
	s_clause 0x2
	global_load_b32 v4, v1, s[4:5]
	global_load_b32 v3, v1, s[4:5] offset:1024
	global_load_b32 v2, v1, s[4:5] offset:2048
	s_cmp_eq_u32 s0, 0
	s_cbranch_scc1 .LBB61_5
; %bb.1:
	v_cmp_ne_u32_e32 vcc_lo, 0xff, v0
	s_branch .LBB61_3
.LBB61_2:                               ;   in Loop: Header=BB61_3 Depth=1
	s_or_b32 exec_lo, exec_lo, s1
	v_sub_nc_u32_e32 v5, v4, v3
	v_sub_nc_u32_e32 v6, v3, v2
	v_add_nc_u32_e32 v2, v0, v2
	s_add_co_i32 s0, s0, -1
	s_wait_loadcnt 0x0
	v_add_nc_u32_e32 v4, v5, v4
	v_add_nc_u32_e32 v3, v6, v3
	s_cmp_lg_u32 s0, 0
	s_barrier_signal -1
	s_barrier_wait -1
	global_inv scope:SCOPE_SE
	s_cbranch_scc0 .LBB61_5
.LBB61_3:                               ; =>This Inner Loop Header: Depth=1
	s_wait_loadcnt 0x0
	v_mov_b32_e32 v0, v2
	ds_store_b32 v1, v4 offset:1024
	s_wait_dscnt 0x0
	s_barrier_signal -1
	s_barrier_wait -1
	global_inv scope:SCOPE_SE
	s_and_saveexec_b32 s1, vcc_lo
	s_cbranch_execz .LBB61_2
; %bb.4:                                ;   in Loop: Header=BB61_3 Depth=1
	ds_load_b32 v0, v1 offset:1028
	s_wait_dscnt 0x0
	v_sub_nc_u32_e32 v0, v2, v0
	s_branch .LBB61_2
.LBB61_5:
	s_add_nc_u64 s[0:1], s[6:7], s[2:3]
	s_wait_loadcnt 0x2
	global_store_b32 v1, v4, s[0:1]
	s_wait_loadcnt 0x1
	global_store_b32 v1, v3, s[0:1] offset:1024
	s_wait_loadcnt 0x0
	global_store_b32 v1, v2, s[0:1] offset:2048
	s_endpgm
	.section	.rodata,"a",@progbits
	.p2align	6, 0x0
	.amdhsa_kernel _Z6kernelI14subtract_rightLj256ELj3ELb0EJPiS1_jEEvDpT3_
		.amdhsa_group_segment_fixed_size 2048
		.amdhsa_private_segment_fixed_size 0
		.amdhsa_kernarg_size 20
		.amdhsa_user_sgpr_count 2
		.amdhsa_user_sgpr_dispatch_ptr 0
		.amdhsa_user_sgpr_queue_ptr 0
		.amdhsa_user_sgpr_kernarg_segment_ptr 1
		.amdhsa_user_sgpr_dispatch_id 0
		.amdhsa_user_sgpr_private_segment_size 0
		.amdhsa_wavefront_size32 1
		.amdhsa_uses_dynamic_stack 0
		.amdhsa_enable_private_segment 0
		.amdhsa_system_sgpr_workgroup_id_x 1
		.amdhsa_system_sgpr_workgroup_id_y 0
		.amdhsa_system_sgpr_workgroup_id_z 0
		.amdhsa_system_sgpr_workgroup_info 0
		.amdhsa_system_vgpr_workitem_id 0
		.amdhsa_next_free_vgpr 7
		.amdhsa_next_free_sgpr 8
		.amdhsa_reserve_vcc 1
		.amdhsa_float_round_mode_32 0
		.amdhsa_float_round_mode_16_64 0
		.amdhsa_float_denorm_mode_32 3
		.amdhsa_float_denorm_mode_16_64 3
		.amdhsa_fp16_overflow 0
		.amdhsa_workgroup_processor_mode 1
		.amdhsa_memory_ordered 1
		.amdhsa_forward_progress 1
		.amdhsa_inst_pref_size 3
		.amdhsa_round_robin_scheduling 0
		.amdhsa_exception_fp_ieee_invalid_op 0
		.amdhsa_exception_fp_denorm_src 0
		.amdhsa_exception_fp_ieee_div_zero 0
		.amdhsa_exception_fp_ieee_overflow 0
		.amdhsa_exception_fp_ieee_underflow 0
		.amdhsa_exception_fp_ieee_inexact 0
		.amdhsa_exception_int_div_zero 0
	.end_amdhsa_kernel
	.section	.text._Z6kernelI14subtract_rightLj256ELj3ELb0EJPiS1_jEEvDpT3_,"axG",@progbits,_Z6kernelI14subtract_rightLj256ELj3ELb0EJPiS1_jEEvDpT3_,comdat
.Lfunc_end61:
	.size	_Z6kernelI14subtract_rightLj256ELj3ELb0EJPiS1_jEEvDpT3_, .Lfunc_end61-_Z6kernelI14subtract_rightLj256ELj3ELb0EJPiS1_jEEvDpT3_
                                        ; -- End function
	.set _Z6kernelI14subtract_rightLj256ELj3ELb0EJPiS1_jEEvDpT3_.num_vgpr, 7
	.set _Z6kernelI14subtract_rightLj256ELj3ELb0EJPiS1_jEEvDpT3_.num_agpr, 0
	.set _Z6kernelI14subtract_rightLj256ELj3ELb0EJPiS1_jEEvDpT3_.numbered_sgpr, 8
	.set _Z6kernelI14subtract_rightLj256ELj3ELb0EJPiS1_jEEvDpT3_.num_named_barrier, 0
	.set _Z6kernelI14subtract_rightLj256ELj3ELb0EJPiS1_jEEvDpT3_.private_seg_size, 0
	.set _Z6kernelI14subtract_rightLj256ELj3ELb0EJPiS1_jEEvDpT3_.uses_vcc, 1
	.set _Z6kernelI14subtract_rightLj256ELj3ELb0EJPiS1_jEEvDpT3_.uses_flat_scratch, 0
	.set _Z6kernelI14subtract_rightLj256ELj3ELb0EJPiS1_jEEvDpT3_.has_dyn_sized_stack, 0
	.set _Z6kernelI14subtract_rightLj256ELj3ELb0EJPiS1_jEEvDpT3_.has_recursion, 0
	.set _Z6kernelI14subtract_rightLj256ELj3ELb0EJPiS1_jEEvDpT3_.has_indirect_call, 0
	.section	.AMDGPU.csdata,"",@progbits
; Kernel info:
; codeLenInByte = 288
; TotalNumSgprs: 10
; NumVgprs: 7
; ScratchSize: 0
; MemoryBound: 0
; FloatMode: 240
; IeeeMode: 1
; LDSByteSize: 2048 bytes/workgroup (compile time only)
; SGPRBlocks: 0
; VGPRBlocks: 0
; NumSGPRsForWavesPerEU: 10
; NumVGPRsForWavesPerEU: 7
; Occupancy: 16
; WaveLimiterHint : 1
; COMPUTE_PGM_RSRC2:SCRATCH_EN: 0
; COMPUTE_PGM_RSRC2:USER_SGPR: 2
; COMPUTE_PGM_RSRC2:TRAP_HANDLER: 0
; COMPUTE_PGM_RSRC2:TGID_X_EN: 1
; COMPUTE_PGM_RSRC2:TGID_Y_EN: 0
; COMPUTE_PGM_RSRC2:TGID_Z_EN: 0
; COMPUTE_PGM_RSRC2:TIDIG_COMP_CNT: 0
	.section	.text._Z6kernelI14subtract_rightLj256ELj4ELb0EJPiS1_jEEvDpT3_,"axG",@progbits,_Z6kernelI14subtract_rightLj256ELj4ELb0EJPiS1_jEEvDpT3_,comdat
	.protected	_Z6kernelI14subtract_rightLj256ELj4ELb0EJPiS1_jEEvDpT3_ ; -- Begin function _Z6kernelI14subtract_rightLj256ELj4ELb0EJPiS1_jEEvDpT3_
	.globl	_Z6kernelI14subtract_rightLj256ELj4ELb0EJPiS1_jEEvDpT3_
	.p2align	8
	.type	_Z6kernelI14subtract_rightLj256ELj4ELb0EJPiS1_jEEvDpT3_,@function
_Z6kernelI14subtract_rightLj256ELj4ELb0EJPiS1_jEEvDpT3_: ; @_Z6kernelI14subtract_rightLj256ELj4ELb0EJPiS1_jEEvDpT3_
; %bb.0:
	s_load_b128 s[4:7], s[0:1], 0x0
	s_lshl_b32 s2, ttmp9, 10
	s_mov_b32 s3, 0
	v_lshlrev_b32_e32 v1, 2, v0
	s_lshl_b64 s[2:3], s[2:3], 2
	s_load_b32 s0, s[0:1], 0x10
	s_wait_kmcnt 0x0
	s_add_nc_u64 s[4:5], s[4:5], s[2:3]
	s_clause 0x3
	global_load_b32 v5, v1, s[4:5]
	global_load_b32 v4, v1, s[4:5] offset:1024
	global_load_b32 v3, v1, s[4:5] offset:2048
	;; [unrolled: 1-line block ×3, first 2 shown]
	s_cmp_eq_u32 s0, 0
	s_cbranch_scc1 .LBB62_5
; %bb.1:
	v_cmp_ne_u32_e32 vcc_lo, 0xff, v0
	s_branch .LBB62_3
.LBB62_2:                               ;   in Loop: Header=BB62_3 Depth=1
	s_or_b32 exec_lo, exec_lo, s1
	v_sub_nc_u32_e32 v6, v5, v4
	v_sub_nc_u32_e32 v7, v4, v3
	;; [unrolled: 1-line block ×3, first 2 shown]
	v_add_nc_u32_e32 v2, v0, v2
	s_add_co_i32 s0, s0, -1
	v_add_nc_u32_e32 v5, v6, v5
	v_add_nc_u32_e32 v4, v7, v4
	;; [unrolled: 1-line block ×3, first 2 shown]
	s_cmp_lg_u32 s0, 0
	s_wait_loadcnt 0x0
	s_barrier_signal -1
	s_barrier_wait -1
	global_inv scope:SCOPE_SE
	s_cbranch_scc0 .LBB62_5
.LBB62_3:                               ; =>This Inner Loop Header: Depth=1
	s_wait_loadcnt 0x0
	v_mov_b32_e32 v0, v2
	ds_store_b32 v1, v5 offset:1024
	s_wait_dscnt 0x0
	s_barrier_signal -1
	s_barrier_wait -1
	global_inv scope:SCOPE_SE
	s_and_saveexec_b32 s1, vcc_lo
	s_cbranch_execz .LBB62_2
; %bb.4:                                ;   in Loop: Header=BB62_3 Depth=1
	ds_load_b32 v0, v1 offset:1028
	s_wait_dscnt 0x0
	v_sub_nc_u32_e32 v0, v2, v0
	s_branch .LBB62_2
.LBB62_5:
	s_add_nc_u64 s[0:1], s[6:7], s[2:3]
	s_wait_loadcnt 0x3
	global_store_b32 v1, v5, s[0:1]
	s_wait_loadcnt 0x2
	global_store_b32 v1, v4, s[0:1] offset:1024
	s_wait_loadcnt 0x1
	global_store_b32 v1, v3, s[0:1] offset:2048
	;; [unrolled: 2-line block ×3, first 2 shown]
	s_endpgm
	.section	.rodata,"a",@progbits
	.p2align	6, 0x0
	.amdhsa_kernel _Z6kernelI14subtract_rightLj256ELj4ELb0EJPiS1_jEEvDpT3_
		.amdhsa_group_segment_fixed_size 2048
		.amdhsa_private_segment_fixed_size 0
		.amdhsa_kernarg_size 20
		.amdhsa_user_sgpr_count 2
		.amdhsa_user_sgpr_dispatch_ptr 0
		.amdhsa_user_sgpr_queue_ptr 0
		.amdhsa_user_sgpr_kernarg_segment_ptr 1
		.amdhsa_user_sgpr_dispatch_id 0
		.amdhsa_user_sgpr_private_segment_size 0
		.amdhsa_wavefront_size32 1
		.amdhsa_uses_dynamic_stack 0
		.amdhsa_enable_private_segment 0
		.amdhsa_system_sgpr_workgroup_id_x 1
		.amdhsa_system_sgpr_workgroup_id_y 0
		.amdhsa_system_sgpr_workgroup_id_z 0
		.amdhsa_system_sgpr_workgroup_info 0
		.amdhsa_system_vgpr_workitem_id 0
		.amdhsa_next_free_vgpr 9
		.amdhsa_next_free_sgpr 8
		.amdhsa_reserve_vcc 1
		.amdhsa_float_round_mode_32 0
		.amdhsa_float_round_mode_16_64 0
		.amdhsa_float_denorm_mode_32 3
		.amdhsa_float_denorm_mode_16_64 3
		.amdhsa_fp16_overflow 0
		.amdhsa_workgroup_processor_mode 1
		.amdhsa_memory_ordered 1
		.amdhsa_forward_progress 1
		.amdhsa_inst_pref_size 3
		.amdhsa_round_robin_scheduling 0
		.amdhsa_exception_fp_ieee_invalid_op 0
		.amdhsa_exception_fp_denorm_src 0
		.amdhsa_exception_fp_ieee_div_zero 0
		.amdhsa_exception_fp_ieee_overflow 0
		.amdhsa_exception_fp_ieee_underflow 0
		.amdhsa_exception_fp_ieee_inexact 0
		.amdhsa_exception_int_div_zero 0
	.end_amdhsa_kernel
	.section	.text._Z6kernelI14subtract_rightLj256ELj4ELb0EJPiS1_jEEvDpT3_,"axG",@progbits,_Z6kernelI14subtract_rightLj256ELj4ELb0EJPiS1_jEEvDpT3_,comdat
.Lfunc_end62:
	.size	_Z6kernelI14subtract_rightLj256ELj4ELb0EJPiS1_jEEvDpT3_, .Lfunc_end62-_Z6kernelI14subtract_rightLj256ELj4ELb0EJPiS1_jEEvDpT3_
                                        ; -- End function
	.set _Z6kernelI14subtract_rightLj256ELj4ELb0EJPiS1_jEEvDpT3_.num_vgpr, 9
	.set _Z6kernelI14subtract_rightLj256ELj4ELb0EJPiS1_jEEvDpT3_.num_agpr, 0
	.set _Z6kernelI14subtract_rightLj256ELj4ELb0EJPiS1_jEEvDpT3_.numbered_sgpr, 8
	.set _Z6kernelI14subtract_rightLj256ELj4ELb0EJPiS1_jEEvDpT3_.num_named_barrier, 0
	.set _Z6kernelI14subtract_rightLj256ELj4ELb0EJPiS1_jEEvDpT3_.private_seg_size, 0
	.set _Z6kernelI14subtract_rightLj256ELj4ELb0EJPiS1_jEEvDpT3_.uses_vcc, 1
	.set _Z6kernelI14subtract_rightLj256ELj4ELb0EJPiS1_jEEvDpT3_.uses_flat_scratch, 0
	.set _Z6kernelI14subtract_rightLj256ELj4ELb0EJPiS1_jEEvDpT3_.has_dyn_sized_stack, 0
	.set _Z6kernelI14subtract_rightLj256ELj4ELb0EJPiS1_jEEvDpT3_.has_recursion, 0
	.set _Z6kernelI14subtract_rightLj256ELj4ELb0EJPiS1_jEEvDpT3_.has_indirect_call, 0
	.section	.AMDGPU.csdata,"",@progbits
; Kernel info:
; codeLenInByte = 320
; TotalNumSgprs: 10
; NumVgprs: 9
; ScratchSize: 0
; MemoryBound: 0
; FloatMode: 240
; IeeeMode: 1
; LDSByteSize: 2048 bytes/workgroup (compile time only)
; SGPRBlocks: 0
; VGPRBlocks: 1
; NumSGPRsForWavesPerEU: 10
; NumVGPRsForWavesPerEU: 9
; Occupancy: 16
; WaveLimiterHint : 1
; COMPUTE_PGM_RSRC2:SCRATCH_EN: 0
; COMPUTE_PGM_RSRC2:USER_SGPR: 2
; COMPUTE_PGM_RSRC2:TRAP_HANDLER: 0
; COMPUTE_PGM_RSRC2:TGID_X_EN: 1
; COMPUTE_PGM_RSRC2:TGID_Y_EN: 0
; COMPUTE_PGM_RSRC2:TGID_Z_EN: 0
; COMPUTE_PGM_RSRC2:TIDIG_COMP_CNT: 0
	.section	.text._Z6kernelI14subtract_rightLj256ELj8ELb0EJPiS1_jEEvDpT3_,"axG",@progbits,_Z6kernelI14subtract_rightLj256ELj8ELb0EJPiS1_jEEvDpT3_,comdat
	.protected	_Z6kernelI14subtract_rightLj256ELj8ELb0EJPiS1_jEEvDpT3_ ; -- Begin function _Z6kernelI14subtract_rightLj256ELj8ELb0EJPiS1_jEEvDpT3_
	.globl	_Z6kernelI14subtract_rightLj256ELj8ELb0EJPiS1_jEEvDpT3_
	.p2align	8
	.type	_Z6kernelI14subtract_rightLj256ELj8ELb0EJPiS1_jEEvDpT3_,@function
_Z6kernelI14subtract_rightLj256ELj8ELb0EJPiS1_jEEvDpT3_: ; @_Z6kernelI14subtract_rightLj256ELj8ELb0EJPiS1_jEEvDpT3_
; %bb.0:
	s_load_b128 s[4:7], s[0:1], 0x0
	s_lshl_b32 s2, ttmp9, 11
	s_mov_b32 s3, 0
	v_lshlrev_b32_e32 v1, 2, v0
	s_lshl_b64 s[2:3], s[2:3], 2
	s_load_b32 s0, s[0:1], 0x10
	s_wait_kmcnt 0x0
	s_add_nc_u64 s[4:5], s[4:5], s[2:3]
	s_clause 0x7
	global_load_b32 v9, v1, s[4:5]
	global_load_b32 v7, v1, s[4:5] offset:1024
	global_load_b32 v8, v1, s[4:5] offset:2048
	;; [unrolled: 1-line block ×7, first 2 shown]
	s_cmp_eq_u32 s0, 0
	s_cbranch_scc1 .LBB63_5
; %bb.1:
	v_cmp_ne_u32_e32 vcc_lo, 0xff, v0
	s_branch .LBB63_3
.LBB63_2:                               ;   in Loop: Header=BB63_3 Depth=1
	s_or_b32 exec_lo, exec_lo, s1
	v_lshlrev_b32_e32 v9, 1, v9
	v_lshlrev_b32_e32 v10, 1, v7
	;; [unrolled: 1-line block ×5, first 2 shown]
	v_sub_nc_u32_e32 v9, v9, v7
	v_sub_nc_u32_e32 v7, v10, v8
	v_lshlrev_b32_e32 v10, 1, v5
	v_lshlrev_b32_e32 v14, 1, v3
	v_sub_nc_u32_e32 v8, v11, v6
	v_sub_nc_u32_e32 v6, v12, v5
	s_add_co_i32 s0, s0, -1
	v_sub_nc_u32_e32 v5, v10, v4
	v_sub_nc_u32_e32 v4, v13, v3
	;; [unrolled: 1-line block ×3, first 2 shown]
	v_add_nc_u32_e32 v2, v0, v2
	s_cmp_lg_u32 s0, 0
	s_wait_loadcnt 0x0
	s_barrier_signal -1
	s_barrier_wait -1
	global_inv scope:SCOPE_SE
	s_cbranch_scc0 .LBB63_5
.LBB63_3:                               ; =>This Inner Loop Header: Depth=1
	s_wait_loadcnt 0x0
	v_mov_b32_e32 v0, v2
	ds_store_b32 v1, v9 offset:1024
	s_wait_dscnt 0x0
	s_barrier_signal -1
	s_barrier_wait -1
	global_inv scope:SCOPE_SE
	s_and_saveexec_b32 s1, vcc_lo
	s_cbranch_execz .LBB63_2
; %bb.4:                                ;   in Loop: Header=BB63_3 Depth=1
	ds_load_b32 v0, v1 offset:1028
	s_wait_dscnt 0x0
	v_sub_nc_u32_e32 v0, v2, v0
	s_branch .LBB63_2
.LBB63_5:
	s_add_nc_u64 s[0:1], s[6:7], s[2:3]
	s_wait_loadcnt 0x7
	global_store_b32 v1, v9, s[0:1]
	s_wait_loadcnt 0x6
	global_store_b32 v1, v7, s[0:1] offset:1024
	s_wait_loadcnt 0x5
	global_store_b32 v1, v8, s[0:1] offset:2048
	;; [unrolled: 2-line block ×7, first 2 shown]
	s_endpgm
	.section	.rodata,"a",@progbits
	.p2align	6, 0x0
	.amdhsa_kernel _Z6kernelI14subtract_rightLj256ELj8ELb0EJPiS1_jEEvDpT3_
		.amdhsa_group_segment_fixed_size 2048
		.amdhsa_private_segment_fixed_size 0
		.amdhsa_kernarg_size 20
		.amdhsa_user_sgpr_count 2
		.amdhsa_user_sgpr_dispatch_ptr 0
		.amdhsa_user_sgpr_queue_ptr 0
		.amdhsa_user_sgpr_kernarg_segment_ptr 1
		.amdhsa_user_sgpr_dispatch_id 0
		.amdhsa_user_sgpr_private_segment_size 0
		.amdhsa_wavefront_size32 1
		.amdhsa_uses_dynamic_stack 0
		.amdhsa_enable_private_segment 0
		.amdhsa_system_sgpr_workgroup_id_x 1
		.amdhsa_system_sgpr_workgroup_id_y 0
		.amdhsa_system_sgpr_workgroup_id_z 0
		.amdhsa_system_sgpr_workgroup_info 0
		.amdhsa_system_vgpr_workitem_id 0
		.amdhsa_next_free_vgpr 15
		.amdhsa_next_free_sgpr 8
		.amdhsa_reserve_vcc 1
		.amdhsa_float_round_mode_32 0
		.amdhsa_float_round_mode_16_64 0
		.amdhsa_float_denorm_mode_32 3
		.amdhsa_float_denorm_mode_16_64 3
		.amdhsa_fp16_overflow 0
		.amdhsa_workgroup_processor_mode 1
		.amdhsa_memory_ordered 1
		.amdhsa_forward_progress 1
		.amdhsa_inst_pref_size 4
		.amdhsa_round_robin_scheduling 0
		.amdhsa_exception_fp_ieee_invalid_op 0
		.amdhsa_exception_fp_denorm_src 0
		.amdhsa_exception_fp_ieee_div_zero 0
		.amdhsa_exception_fp_ieee_overflow 0
		.amdhsa_exception_fp_ieee_underflow 0
		.amdhsa_exception_fp_ieee_inexact 0
		.amdhsa_exception_int_div_zero 0
	.end_amdhsa_kernel
	.section	.text._Z6kernelI14subtract_rightLj256ELj8ELb0EJPiS1_jEEvDpT3_,"axG",@progbits,_Z6kernelI14subtract_rightLj256ELj8ELb0EJPiS1_jEEvDpT3_,comdat
.Lfunc_end63:
	.size	_Z6kernelI14subtract_rightLj256ELj8ELb0EJPiS1_jEEvDpT3_, .Lfunc_end63-_Z6kernelI14subtract_rightLj256ELj8ELb0EJPiS1_jEEvDpT3_
                                        ; -- End function
	.set _Z6kernelI14subtract_rightLj256ELj8ELb0EJPiS1_jEEvDpT3_.num_vgpr, 15
	.set _Z6kernelI14subtract_rightLj256ELj8ELb0EJPiS1_jEEvDpT3_.num_agpr, 0
	.set _Z6kernelI14subtract_rightLj256ELj8ELb0EJPiS1_jEEvDpT3_.numbered_sgpr, 8
	.set _Z6kernelI14subtract_rightLj256ELj8ELb0EJPiS1_jEEvDpT3_.num_named_barrier, 0
	.set _Z6kernelI14subtract_rightLj256ELj8ELb0EJPiS1_jEEvDpT3_.private_seg_size, 0
	.set _Z6kernelI14subtract_rightLj256ELj8ELb0EJPiS1_jEEvDpT3_.uses_vcc, 1
	.set _Z6kernelI14subtract_rightLj256ELj8ELb0EJPiS1_jEEvDpT3_.uses_flat_scratch, 0
	.set _Z6kernelI14subtract_rightLj256ELj8ELb0EJPiS1_jEEvDpT3_.has_dyn_sized_stack, 0
	.set _Z6kernelI14subtract_rightLj256ELj8ELb0EJPiS1_jEEvDpT3_.has_recursion, 0
	.set _Z6kernelI14subtract_rightLj256ELj8ELb0EJPiS1_jEEvDpT3_.has_indirect_call, 0
	.section	.AMDGPU.csdata,"",@progbits
; Kernel info:
; codeLenInByte = 464
; TotalNumSgprs: 10
; NumVgprs: 15
; ScratchSize: 0
; MemoryBound: 0
; FloatMode: 240
; IeeeMode: 1
; LDSByteSize: 2048 bytes/workgroup (compile time only)
; SGPRBlocks: 0
; VGPRBlocks: 1
; NumSGPRsForWavesPerEU: 10
; NumVGPRsForWavesPerEU: 15
; Occupancy: 16
; WaveLimiterHint : 1
; COMPUTE_PGM_RSRC2:SCRATCH_EN: 0
; COMPUTE_PGM_RSRC2:USER_SGPR: 2
; COMPUTE_PGM_RSRC2:TRAP_HANDLER: 0
; COMPUTE_PGM_RSRC2:TGID_X_EN: 1
; COMPUTE_PGM_RSRC2:TGID_Y_EN: 0
; COMPUTE_PGM_RSRC2:TGID_Z_EN: 0
; COMPUTE_PGM_RSRC2:TIDIG_COMP_CNT: 0
	.section	.text._Z6kernelI14subtract_rightLj256ELj16ELb0EJPiS1_jEEvDpT3_,"axG",@progbits,_Z6kernelI14subtract_rightLj256ELj16ELb0EJPiS1_jEEvDpT3_,comdat
	.protected	_Z6kernelI14subtract_rightLj256ELj16ELb0EJPiS1_jEEvDpT3_ ; -- Begin function _Z6kernelI14subtract_rightLj256ELj16ELb0EJPiS1_jEEvDpT3_
	.globl	_Z6kernelI14subtract_rightLj256ELj16ELb0EJPiS1_jEEvDpT3_
	.p2align	8
	.type	_Z6kernelI14subtract_rightLj256ELj16ELb0EJPiS1_jEEvDpT3_,@function
_Z6kernelI14subtract_rightLj256ELj16ELb0EJPiS1_jEEvDpT3_: ; @_Z6kernelI14subtract_rightLj256ELj16ELb0EJPiS1_jEEvDpT3_
; %bb.0:
	s_load_b128 s[4:7], s[0:1], 0x0
	s_lshl_b32 s2, ttmp9, 12
	s_mov_b32 s3, 0
	v_lshlrev_b32_e32 v1, 2, v0
	s_lshl_b64 s[2:3], s[2:3], 2
	s_load_b32 s0, s[0:1], 0x10
	s_wait_kmcnt 0x0
	s_add_nc_u64 s[4:5], s[4:5], s[2:3]
	s_clause 0xf
	global_load_b32 v17, v1, s[4:5]
	global_load_b32 v16, v1, s[4:5] offset:1024
	global_load_b32 v15, v1, s[4:5] offset:2048
	;; [unrolled: 1-line block ×15, first 2 shown]
	s_cmp_eq_u32 s0, 0
	s_cbranch_scc1 .LBB64_5
; %bb.1:
	v_cmp_ne_u32_e32 vcc_lo, 0xff, v0
	s_branch .LBB64_3
.LBB64_2:                               ;   in Loop: Header=BB64_3 Depth=1
	s_or_b32 exec_lo, exec_lo, s1
	v_sub_nc_u32_e32 v18, v17, v16
	v_sub_nc_u32_e32 v19, v16, v15
	;; [unrolled: 1-line block ×15, first 2 shown]
	v_add_nc_u32_e32 v17, v18, v17
	v_add_nc_u32_e32 v16, v19, v16
	v_add_nc_u32_e32 v15, v20, v15
	v_add_nc_u32_e32 v14, v21, v14
	v_add_nc_u32_e32 v13, v22, v13
	v_add_nc_u32_e32 v12, v23, v12
	v_add_nc_u32_e32 v11, v24, v11
	v_add_nc_u32_e32 v10, v25, v10
	v_add_nc_u32_e32 v9, v26, v9
	v_add_nc_u32_e32 v8, v27, v8
	v_add_nc_u32_e32 v7, v28, v7
	v_add_nc_u32_e32 v6, v29, v6
	v_add_nc_u32_e32 v5, v30, v5
	v_add_nc_u32_e32 v4, v31, v4
	v_add_nc_u32_e32 v3, v32, v3
	v_add_nc_u32_e32 v2, v0, v2
	s_add_co_i32 s0, s0, -1
	s_wait_loadcnt 0x0
	s_cmp_lg_u32 s0, 0
	s_barrier_signal -1
	s_barrier_wait -1
	global_inv scope:SCOPE_SE
	s_cbranch_scc0 .LBB64_5
.LBB64_3:                               ; =>This Inner Loop Header: Depth=1
	s_wait_loadcnt 0x0
	v_mov_b32_e32 v0, v2
	ds_store_b32 v1, v17 offset:1024
	s_wait_dscnt 0x0
	s_barrier_signal -1
	s_barrier_wait -1
	global_inv scope:SCOPE_SE
	s_and_saveexec_b32 s1, vcc_lo
	s_cbranch_execz .LBB64_2
; %bb.4:                                ;   in Loop: Header=BB64_3 Depth=1
	ds_load_b32 v0, v1 offset:1028
	s_wait_dscnt 0x0
	v_sub_nc_u32_e32 v0, v2, v0
	s_branch .LBB64_2
.LBB64_5:
	s_add_nc_u64 s[0:1], s[6:7], s[2:3]
	s_wait_loadcnt 0xf
	global_store_b32 v1, v17, s[0:1]
	s_wait_loadcnt 0xe
	global_store_b32 v1, v16, s[0:1] offset:1024
	s_wait_loadcnt 0xd
	global_store_b32 v1, v15, s[0:1] offset:2048
	;; [unrolled: 2-line block ×15, first 2 shown]
	s_endpgm
	.section	.rodata,"a",@progbits
	.p2align	6, 0x0
	.amdhsa_kernel _Z6kernelI14subtract_rightLj256ELj16ELb0EJPiS1_jEEvDpT3_
		.amdhsa_group_segment_fixed_size 2048
		.amdhsa_private_segment_fixed_size 0
		.amdhsa_kernarg_size 20
		.amdhsa_user_sgpr_count 2
		.amdhsa_user_sgpr_dispatch_ptr 0
		.amdhsa_user_sgpr_queue_ptr 0
		.amdhsa_user_sgpr_kernarg_segment_ptr 1
		.amdhsa_user_sgpr_dispatch_id 0
		.amdhsa_user_sgpr_private_segment_size 0
		.amdhsa_wavefront_size32 1
		.amdhsa_uses_dynamic_stack 0
		.amdhsa_enable_private_segment 0
		.amdhsa_system_sgpr_workgroup_id_x 1
		.amdhsa_system_sgpr_workgroup_id_y 0
		.amdhsa_system_sgpr_workgroup_id_z 0
		.amdhsa_system_sgpr_workgroup_info 0
		.amdhsa_system_vgpr_workitem_id 0
		.amdhsa_next_free_vgpr 33
		.amdhsa_next_free_sgpr 8
		.amdhsa_reserve_vcc 1
		.amdhsa_float_round_mode_32 0
		.amdhsa_float_round_mode_16_64 0
		.amdhsa_float_denorm_mode_32 3
		.amdhsa_float_denorm_mode_16_64 3
		.amdhsa_fp16_overflow 0
		.amdhsa_workgroup_processor_mode 1
		.amdhsa_memory_ordered 1
		.amdhsa_forward_progress 1
		.amdhsa_inst_pref_size 6
		.amdhsa_round_robin_scheduling 0
		.amdhsa_exception_fp_ieee_invalid_op 0
		.amdhsa_exception_fp_denorm_src 0
		.amdhsa_exception_fp_ieee_div_zero 0
		.amdhsa_exception_fp_ieee_overflow 0
		.amdhsa_exception_fp_ieee_underflow 0
		.amdhsa_exception_fp_ieee_inexact 0
		.amdhsa_exception_int_div_zero 0
	.end_amdhsa_kernel
	.section	.text._Z6kernelI14subtract_rightLj256ELj16ELb0EJPiS1_jEEvDpT3_,"axG",@progbits,_Z6kernelI14subtract_rightLj256ELj16ELb0EJPiS1_jEEvDpT3_,comdat
.Lfunc_end64:
	.size	_Z6kernelI14subtract_rightLj256ELj16ELb0EJPiS1_jEEvDpT3_, .Lfunc_end64-_Z6kernelI14subtract_rightLj256ELj16ELb0EJPiS1_jEEvDpT3_
                                        ; -- End function
	.set _Z6kernelI14subtract_rightLj256ELj16ELb0EJPiS1_jEEvDpT3_.num_vgpr, 33
	.set _Z6kernelI14subtract_rightLj256ELj16ELb0EJPiS1_jEEvDpT3_.num_agpr, 0
	.set _Z6kernelI14subtract_rightLj256ELj16ELb0EJPiS1_jEEvDpT3_.numbered_sgpr, 8
	.set _Z6kernelI14subtract_rightLj256ELj16ELb0EJPiS1_jEEvDpT3_.num_named_barrier, 0
	.set _Z6kernelI14subtract_rightLj256ELj16ELb0EJPiS1_jEEvDpT3_.private_seg_size, 0
	.set _Z6kernelI14subtract_rightLj256ELj16ELb0EJPiS1_jEEvDpT3_.uses_vcc, 1
	.set _Z6kernelI14subtract_rightLj256ELj16ELb0EJPiS1_jEEvDpT3_.uses_flat_scratch, 0
	.set _Z6kernelI14subtract_rightLj256ELj16ELb0EJPiS1_jEEvDpT3_.has_dyn_sized_stack, 0
	.set _Z6kernelI14subtract_rightLj256ELj16ELb0EJPiS1_jEEvDpT3_.has_recursion, 0
	.set _Z6kernelI14subtract_rightLj256ELj16ELb0EJPiS1_jEEvDpT3_.has_indirect_call, 0
	.section	.AMDGPU.csdata,"",@progbits
; Kernel info:
; codeLenInByte = 752
; TotalNumSgprs: 10
; NumVgprs: 33
; ScratchSize: 0
; MemoryBound: 0
; FloatMode: 240
; IeeeMode: 1
; LDSByteSize: 2048 bytes/workgroup (compile time only)
; SGPRBlocks: 0
; VGPRBlocks: 4
; NumSGPRsForWavesPerEU: 10
; NumVGPRsForWavesPerEU: 33
; Occupancy: 16
; WaveLimiterHint : 1
; COMPUTE_PGM_RSRC2:SCRATCH_EN: 0
; COMPUTE_PGM_RSRC2:USER_SGPR: 2
; COMPUTE_PGM_RSRC2:TRAP_HANDLER: 0
; COMPUTE_PGM_RSRC2:TGID_X_EN: 1
; COMPUTE_PGM_RSRC2:TGID_Y_EN: 0
; COMPUTE_PGM_RSRC2:TGID_Z_EN: 0
; COMPUTE_PGM_RSRC2:TIDIG_COMP_CNT: 0
	.section	.text._Z6kernelI14subtract_rightLj256ELj32ELb0EJPiS1_jEEvDpT3_,"axG",@progbits,_Z6kernelI14subtract_rightLj256ELj32ELb0EJPiS1_jEEvDpT3_,comdat
	.protected	_Z6kernelI14subtract_rightLj256ELj32ELb0EJPiS1_jEEvDpT3_ ; -- Begin function _Z6kernelI14subtract_rightLj256ELj32ELb0EJPiS1_jEEvDpT3_
	.globl	_Z6kernelI14subtract_rightLj256ELj32ELb0EJPiS1_jEEvDpT3_
	.p2align	8
	.type	_Z6kernelI14subtract_rightLj256ELj32ELb0EJPiS1_jEEvDpT3_,@function
_Z6kernelI14subtract_rightLj256ELj32ELb0EJPiS1_jEEvDpT3_: ; @_Z6kernelI14subtract_rightLj256ELj32ELb0EJPiS1_jEEvDpT3_
; %bb.0:
	s_load_b128 s[4:7], s[0:1], 0x0
	s_lshl_b32 s2, ttmp9, 13
	s_mov_b32 s3, 0
	v_lshlrev_b32_e32 v1, 2, v0
	s_lshl_b64 s[2:3], s[2:3], 2
	s_load_b32 s0, s[0:1], 0x10
	s_wait_kmcnt 0x0
	s_add_nc_u64 s[4:5], s[4:5], s[2:3]
	s_clause 0x1f
	global_load_b32 v33, v1, s[4:5]
	global_load_b32 v32, v1, s[4:5] offset:1024
	global_load_b32 v31, v1, s[4:5] offset:2048
	;; [unrolled: 1-line block ×31, first 2 shown]
	s_cmp_eq_u32 s0, 0
	s_cbranch_scc1 .LBB65_5
; %bb.1:
	v_cmp_ne_u32_e32 vcc_lo, 0xff, v0
	s_branch .LBB65_3
.LBB65_2:                               ;   in Loop: Header=BB65_3 Depth=1
	s_or_b32 exec_lo, exec_lo, s1
	v_sub_nc_u32_e32 v34, v33, v32
	v_sub_nc_u32_e32 v35, v32, v31
	;; [unrolled: 1-line block ×31, first 2 shown]
	v_add_nc_u32_e32 v33, v34, v33
	v_add_nc_u32_e32 v32, v35, v32
	;; [unrolled: 1-line block ×32, first 2 shown]
	s_add_co_i32 s0, s0, -1
	s_wait_loadcnt 0x0
	s_cmp_lg_u32 s0, 0
	s_barrier_signal -1
	s_barrier_wait -1
	global_inv scope:SCOPE_SE
	s_cbranch_scc0 .LBB65_5
.LBB65_3:                               ; =>This Inner Loop Header: Depth=1
	s_wait_loadcnt 0x0
	v_mov_b32_e32 v0, v2
	ds_store_b32 v1, v33 offset:1024
	s_wait_dscnt 0x0
	s_barrier_signal -1
	s_barrier_wait -1
	global_inv scope:SCOPE_SE
	s_and_saveexec_b32 s1, vcc_lo
	s_cbranch_execz .LBB65_2
; %bb.4:                                ;   in Loop: Header=BB65_3 Depth=1
	ds_load_b32 v0, v1 offset:1028
	s_wait_dscnt 0x0
	v_sub_nc_u32_e32 v0, v2, v0
	s_branch .LBB65_2
.LBB65_5:
	s_add_nc_u64 s[0:1], s[6:7], s[2:3]
	s_wait_loadcnt 0x1f
	global_store_b32 v1, v33, s[0:1]
	s_wait_loadcnt 0x1e
	global_store_b32 v1, v32, s[0:1] offset:1024
	s_wait_loadcnt 0x1d
	global_store_b32 v1, v31, s[0:1] offset:2048
	;; [unrolled: 2-line block ×31, first 2 shown]
	s_endpgm
	.section	.rodata,"a",@progbits
	.p2align	6, 0x0
	.amdhsa_kernel _Z6kernelI14subtract_rightLj256ELj32ELb0EJPiS1_jEEvDpT3_
		.amdhsa_group_segment_fixed_size 2048
		.amdhsa_private_segment_fixed_size 0
		.amdhsa_kernarg_size 20
		.amdhsa_user_sgpr_count 2
		.amdhsa_user_sgpr_dispatch_ptr 0
		.amdhsa_user_sgpr_queue_ptr 0
		.amdhsa_user_sgpr_kernarg_segment_ptr 1
		.amdhsa_user_sgpr_dispatch_id 0
		.amdhsa_user_sgpr_private_segment_size 0
		.amdhsa_wavefront_size32 1
		.amdhsa_uses_dynamic_stack 0
		.amdhsa_enable_private_segment 0
		.amdhsa_system_sgpr_workgroup_id_x 1
		.amdhsa_system_sgpr_workgroup_id_y 0
		.amdhsa_system_sgpr_workgroup_id_z 0
		.amdhsa_system_sgpr_workgroup_info 0
		.amdhsa_system_vgpr_workitem_id 0
		.amdhsa_next_free_vgpr 65
		.amdhsa_next_free_sgpr 8
		.amdhsa_reserve_vcc 1
		.amdhsa_float_round_mode_32 0
		.amdhsa_float_round_mode_16_64 0
		.amdhsa_float_denorm_mode_32 3
		.amdhsa_float_denorm_mode_16_64 3
		.amdhsa_fp16_overflow 0
		.amdhsa_workgroup_processor_mode 1
		.amdhsa_memory_ordered 1
		.amdhsa_forward_progress 1
		.amdhsa_inst_pref_size 11
		.amdhsa_round_robin_scheduling 0
		.amdhsa_exception_fp_ieee_invalid_op 0
		.amdhsa_exception_fp_denorm_src 0
		.amdhsa_exception_fp_ieee_div_zero 0
		.amdhsa_exception_fp_ieee_overflow 0
		.amdhsa_exception_fp_ieee_underflow 0
		.amdhsa_exception_fp_ieee_inexact 0
		.amdhsa_exception_int_div_zero 0
	.end_amdhsa_kernel
	.section	.text._Z6kernelI14subtract_rightLj256ELj32ELb0EJPiS1_jEEvDpT3_,"axG",@progbits,_Z6kernelI14subtract_rightLj256ELj32ELb0EJPiS1_jEEvDpT3_,comdat
.Lfunc_end65:
	.size	_Z6kernelI14subtract_rightLj256ELj32ELb0EJPiS1_jEEvDpT3_, .Lfunc_end65-_Z6kernelI14subtract_rightLj256ELj32ELb0EJPiS1_jEEvDpT3_
                                        ; -- End function
	.set _Z6kernelI14subtract_rightLj256ELj32ELb0EJPiS1_jEEvDpT3_.num_vgpr, 65
	.set _Z6kernelI14subtract_rightLj256ELj32ELb0EJPiS1_jEEvDpT3_.num_agpr, 0
	.set _Z6kernelI14subtract_rightLj256ELj32ELb0EJPiS1_jEEvDpT3_.numbered_sgpr, 8
	.set _Z6kernelI14subtract_rightLj256ELj32ELb0EJPiS1_jEEvDpT3_.num_named_barrier, 0
	.set _Z6kernelI14subtract_rightLj256ELj32ELb0EJPiS1_jEEvDpT3_.private_seg_size, 0
	.set _Z6kernelI14subtract_rightLj256ELj32ELb0EJPiS1_jEEvDpT3_.uses_vcc, 1
	.set _Z6kernelI14subtract_rightLj256ELj32ELb0EJPiS1_jEEvDpT3_.uses_flat_scratch, 0
	.set _Z6kernelI14subtract_rightLj256ELj32ELb0EJPiS1_jEEvDpT3_.has_dyn_sized_stack, 0
	.set _Z6kernelI14subtract_rightLj256ELj32ELb0EJPiS1_jEEvDpT3_.has_recursion, 0
	.set _Z6kernelI14subtract_rightLj256ELj32ELb0EJPiS1_jEEvDpT3_.has_indirect_call, 0
	.section	.AMDGPU.csdata,"",@progbits
; Kernel info:
; codeLenInByte = 1328
; TotalNumSgprs: 10
; NumVgprs: 65
; ScratchSize: 0
; MemoryBound: 0
; FloatMode: 240
; IeeeMode: 1
; LDSByteSize: 2048 bytes/workgroup (compile time only)
; SGPRBlocks: 0
; VGPRBlocks: 8
; NumSGPRsForWavesPerEU: 10
; NumVGPRsForWavesPerEU: 65
; Occupancy: 16
; WaveLimiterHint : 1
; COMPUTE_PGM_RSRC2:SCRATCH_EN: 0
; COMPUTE_PGM_RSRC2:USER_SGPR: 2
; COMPUTE_PGM_RSRC2:TRAP_HANDLER: 0
; COMPUTE_PGM_RSRC2:TGID_X_EN: 1
; COMPUTE_PGM_RSRC2:TGID_Y_EN: 0
; COMPUTE_PGM_RSRC2:TGID_Z_EN: 0
; COMPUTE_PGM_RSRC2:TIDIG_COMP_CNT: 0
	.section	.text._Z6kernelI14subtract_rightLj256ELj1ELb0EJPfS1_jEEvDpT3_,"axG",@progbits,_Z6kernelI14subtract_rightLj256ELj1ELb0EJPfS1_jEEvDpT3_,comdat
	.protected	_Z6kernelI14subtract_rightLj256ELj1ELb0EJPfS1_jEEvDpT3_ ; -- Begin function _Z6kernelI14subtract_rightLj256ELj1ELb0EJPfS1_jEEvDpT3_
	.globl	_Z6kernelI14subtract_rightLj256ELj1ELb0EJPfS1_jEEvDpT3_
	.p2align	8
	.type	_Z6kernelI14subtract_rightLj256ELj1ELb0EJPfS1_jEEvDpT3_,@function
_Z6kernelI14subtract_rightLj256ELj1ELb0EJPfS1_jEEvDpT3_: ; @_Z6kernelI14subtract_rightLj256ELj1ELb0EJPfS1_jEEvDpT3_
; %bb.0:
	s_load_b128 s[4:7], s[0:1], 0x0
	s_lshl_b32 s2, ttmp9, 8
	s_mov_b32 s3, 0
	v_lshlrev_b32_e32 v1, 2, v0
	s_lshl_b64 s[2:3], s[2:3], 2
	s_load_b32 s0, s[0:1], 0x10
	s_wait_kmcnt 0x0
	s_add_nc_u64 s[4:5], s[4:5], s[2:3]
	global_load_b32 v2, v1, s[4:5]
	s_cmp_eq_u32 s0, 0
	s_cbranch_scc1 .LBB66_5
; %bb.1:
	v_cmp_ne_u32_e32 vcc_lo, 0xff, v0
	s_branch .LBB66_3
.LBB66_2:                               ;   in Loop: Header=BB66_3 Depth=1
	s_or_b32 exec_lo, exec_lo, s1
	s_delay_alu instid0(VALU_DEP_1)
	v_add_f32_e32 v2, v2, v0
	s_add_co_i32 s0, s0, -1
	s_wait_loadcnt 0x0
	s_cmp_lg_u32 s0, 0
	s_barrier_signal -1
	s_barrier_wait -1
	global_inv scope:SCOPE_SE
	s_cbranch_scc0 .LBB66_5
.LBB66_3:                               ; =>This Inner Loop Header: Depth=1
	s_wait_loadcnt 0x0
	v_mov_b32_e32 v0, v2
	ds_store_b32 v1, v2 offset:1024
	s_wait_dscnt 0x0
	s_barrier_signal -1
	s_barrier_wait -1
	global_inv scope:SCOPE_SE
	s_and_saveexec_b32 s1, vcc_lo
	s_cbranch_execz .LBB66_2
; %bb.4:                                ;   in Loop: Header=BB66_3 Depth=1
	ds_load_b32 v0, v1 offset:1028
	s_wait_dscnt 0x0
	v_sub_f32_e32 v0, v2, v0
	s_branch .LBB66_2
.LBB66_5:
	s_add_nc_u64 s[0:1], s[6:7], s[2:3]
	s_wait_loadcnt 0x0
	global_store_b32 v1, v2, s[0:1]
	s_endpgm
	.section	.rodata,"a",@progbits
	.p2align	6, 0x0
	.amdhsa_kernel _Z6kernelI14subtract_rightLj256ELj1ELb0EJPfS1_jEEvDpT3_
		.amdhsa_group_segment_fixed_size 2048
		.amdhsa_private_segment_fixed_size 0
		.amdhsa_kernarg_size 20
		.amdhsa_user_sgpr_count 2
		.amdhsa_user_sgpr_dispatch_ptr 0
		.amdhsa_user_sgpr_queue_ptr 0
		.amdhsa_user_sgpr_kernarg_segment_ptr 1
		.amdhsa_user_sgpr_dispatch_id 0
		.amdhsa_user_sgpr_private_segment_size 0
		.amdhsa_wavefront_size32 1
		.amdhsa_uses_dynamic_stack 0
		.amdhsa_enable_private_segment 0
		.amdhsa_system_sgpr_workgroup_id_x 1
		.amdhsa_system_sgpr_workgroup_id_y 0
		.amdhsa_system_sgpr_workgroup_id_z 0
		.amdhsa_system_sgpr_workgroup_info 0
		.amdhsa_system_vgpr_workitem_id 0
		.amdhsa_next_free_vgpr 3
		.amdhsa_next_free_sgpr 8
		.amdhsa_reserve_vcc 1
		.amdhsa_float_round_mode_32 0
		.amdhsa_float_round_mode_16_64 0
		.amdhsa_float_denorm_mode_32 3
		.amdhsa_float_denorm_mode_16_64 3
		.amdhsa_fp16_overflow 0
		.amdhsa_workgroup_processor_mode 1
		.amdhsa_memory_ordered 1
		.amdhsa_forward_progress 1
		.amdhsa_inst_pref_size 2
		.amdhsa_round_robin_scheduling 0
		.amdhsa_exception_fp_ieee_invalid_op 0
		.amdhsa_exception_fp_denorm_src 0
		.amdhsa_exception_fp_ieee_div_zero 0
		.amdhsa_exception_fp_ieee_overflow 0
		.amdhsa_exception_fp_ieee_underflow 0
		.amdhsa_exception_fp_ieee_inexact 0
		.amdhsa_exception_int_div_zero 0
	.end_amdhsa_kernel
	.section	.text._Z6kernelI14subtract_rightLj256ELj1ELb0EJPfS1_jEEvDpT3_,"axG",@progbits,_Z6kernelI14subtract_rightLj256ELj1ELb0EJPfS1_jEEvDpT3_,comdat
.Lfunc_end66:
	.size	_Z6kernelI14subtract_rightLj256ELj1ELb0EJPfS1_jEEvDpT3_, .Lfunc_end66-_Z6kernelI14subtract_rightLj256ELj1ELb0EJPfS1_jEEvDpT3_
                                        ; -- End function
	.set _Z6kernelI14subtract_rightLj256ELj1ELb0EJPfS1_jEEvDpT3_.num_vgpr, 3
	.set _Z6kernelI14subtract_rightLj256ELj1ELb0EJPfS1_jEEvDpT3_.num_agpr, 0
	.set _Z6kernelI14subtract_rightLj256ELj1ELb0EJPfS1_jEEvDpT3_.numbered_sgpr, 8
	.set _Z6kernelI14subtract_rightLj256ELj1ELb0EJPfS1_jEEvDpT3_.num_named_barrier, 0
	.set _Z6kernelI14subtract_rightLj256ELj1ELb0EJPfS1_jEEvDpT3_.private_seg_size, 0
	.set _Z6kernelI14subtract_rightLj256ELj1ELb0EJPfS1_jEEvDpT3_.uses_vcc, 1
	.set _Z6kernelI14subtract_rightLj256ELj1ELb0EJPfS1_jEEvDpT3_.uses_flat_scratch, 0
	.set _Z6kernelI14subtract_rightLj256ELj1ELb0EJPfS1_jEEvDpT3_.has_dyn_sized_stack, 0
	.set _Z6kernelI14subtract_rightLj256ELj1ELb0EJPfS1_jEEvDpT3_.has_recursion, 0
	.set _Z6kernelI14subtract_rightLj256ELj1ELb0EJPfS1_jEEvDpT3_.has_indirect_call, 0
	.section	.AMDGPU.csdata,"",@progbits
; Kernel info:
; codeLenInByte = 212
; TotalNumSgprs: 10
; NumVgprs: 3
; ScratchSize: 0
; MemoryBound: 0
; FloatMode: 240
; IeeeMode: 1
; LDSByteSize: 2048 bytes/workgroup (compile time only)
; SGPRBlocks: 0
; VGPRBlocks: 0
; NumSGPRsForWavesPerEU: 10
; NumVGPRsForWavesPerEU: 3
; Occupancy: 16
; WaveLimiterHint : 0
; COMPUTE_PGM_RSRC2:SCRATCH_EN: 0
; COMPUTE_PGM_RSRC2:USER_SGPR: 2
; COMPUTE_PGM_RSRC2:TRAP_HANDLER: 0
; COMPUTE_PGM_RSRC2:TGID_X_EN: 1
; COMPUTE_PGM_RSRC2:TGID_Y_EN: 0
; COMPUTE_PGM_RSRC2:TGID_Z_EN: 0
; COMPUTE_PGM_RSRC2:TIDIG_COMP_CNT: 0
	.section	.text._Z6kernelI14subtract_rightLj256ELj3ELb0EJPfS1_jEEvDpT3_,"axG",@progbits,_Z6kernelI14subtract_rightLj256ELj3ELb0EJPfS1_jEEvDpT3_,comdat
	.protected	_Z6kernelI14subtract_rightLj256ELj3ELb0EJPfS1_jEEvDpT3_ ; -- Begin function _Z6kernelI14subtract_rightLj256ELj3ELb0EJPfS1_jEEvDpT3_
	.globl	_Z6kernelI14subtract_rightLj256ELj3ELb0EJPfS1_jEEvDpT3_
	.p2align	8
	.type	_Z6kernelI14subtract_rightLj256ELj3ELb0EJPfS1_jEEvDpT3_,@function
_Z6kernelI14subtract_rightLj256ELj3ELb0EJPfS1_jEEvDpT3_: ; @_Z6kernelI14subtract_rightLj256ELj3ELb0EJPfS1_jEEvDpT3_
; %bb.0:
	s_load_b128 s[4:7], s[0:1], 0x0
	s_mul_i32 s2, ttmp9, 0x300
	s_mov_b32 s3, 0
	v_lshlrev_b32_e32 v1, 2, v0
	s_lshl_b64 s[2:3], s[2:3], 2
	s_load_b32 s0, s[0:1], 0x10
	s_wait_kmcnt 0x0
	s_add_nc_u64 s[4:5], s[4:5], s[2:3]
	s_clause 0x2
	global_load_b32 v4, v1, s[4:5]
	global_load_b32 v3, v1, s[4:5] offset:1024
	global_load_b32 v2, v1, s[4:5] offset:2048
	s_cmp_eq_u32 s0, 0
	s_cbranch_scc1 .LBB67_5
; %bb.1:
	v_cmp_ne_u32_e32 vcc_lo, 0xff, v0
	s_branch .LBB67_3
.LBB67_2:                               ;   in Loop: Header=BB67_3 Depth=1
	s_or_b32 exec_lo, exec_lo, s1
	v_dual_sub_f32 v5, v4, v3 :: v_dual_sub_f32 v6, v3, v2
	s_delay_alu instid0(VALU_DEP_2) | instskip(SKIP_2) | instid1(VALU_DEP_2)
	v_add_f32_e32 v2, v2, v0
	s_add_co_i32 s0, s0, -1
	s_wait_loadcnt 0x0
	v_dual_add_f32 v4, v4, v5 :: v_dual_add_f32 v3, v3, v6
	s_cmp_lg_u32 s0, 0
	s_barrier_signal -1
	s_barrier_wait -1
	global_inv scope:SCOPE_SE
	s_cbranch_scc0 .LBB67_5
.LBB67_3:                               ; =>This Inner Loop Header: Depth=1
	s_wait_loadcnt 0x0
	v_mov_b32_e32 v0, v2
	ds_store_b32 v1, v4 offset:1024
	s_wait_dscnt 0x0
	s_barrier_signal -1
	s_barrier_wait -1
	global_inv scope:SCOPE_SE
	s_and_saveexec_b32 s1, vcc_lo
	s_cbranch_execz .LBB67_2
; %bb.4:                                ;   in Loop: Header=BB67_3 Depth=1
	ds_load_b32 v0, v1 offset:1028
	s_wait_dscnt 0x0
	v_sub_f32_e32 v0, v2, v0
	s_branch .LBB67_2
.LBB67_5:
	s_add_nc_u64 s[0:1], s[6:7], s[2:3]
	s_wait_loadcnt 0x2
	global_store_b32 v1, v4, s[0:1]
	s_wait_loadcnt 0x1
	global_store_b32 v1, v3, s[0:1] offset:1024
	s_wait_loadcnt 0x0
	global_store_b32 v1, v2, s[0:1] offset:2048
	s_endpgm
	.section	.rodata,"a",@progbits
	.p2align	6, 0x0
	.amdhsa_kernel _Z6kernelI14subtract_rightLj256ELj3ELb0EJPfS1_jEEvDpT3_
		.amdhsa_group_segment_fixed_size 2048
		.amdhsa_private_segment_fixed_size 0
		.amdhsa_kernarg_size 20
		.amdhsa_user_sgpr_count 2
		.amdhsa_user_sgpr_dispatch_ptr 0
		.amdhsa_user_sgpr_queue_ptr 0
		.amdhsa_user_sgpr_kernarg_segment_ptr 1
		.amdhsa_user_sgpr_dispatch_id 0
		.amdhsa_user_sgpr_private_segment_size 0
		.amdhsa_wavefront_size32 1
		.amdhsa_uses_dynamic_stack 0
		.amdhsa_enable_private_segment 0
		.amdhsa_system_sgpr_workgroup_id_x 1
		.amdhsa_system_sgpr_workgroup_id_y 0
		.amdhsa_system_sgpr_workgroup_id_z 0
		.amdhsa_system_sgpr_workgroup_info 0
		.amdhsa_system_vgpr_workitem_id 0
		.amdhsa_next_free_vgpr 7
		.amdhsa_next_free_sgpr 8
		.amdhsa_reserve_vcc 1
		.amdhsa_float_round_mode_32 0
		.amdhsa_float_round_mode_16_64 0
		.amdhsa_float_denorm_mode_32 3
		.amdhsa_float_denorm_mode_16_64 3
		.amdhsa_fp16_overflow 0
		.amdhsa_workgroup_processor_mode 1
		.amdhsa_memory_ordered 1
		.amdhsa_forward_progress 1
		.amdhsa_inst_pref_size 3
		.amdhsa_round_robin_scheduling 0
		.amdhsa_exception_fp_ieee_invalid_op 0
		.amdhsa_exception_fp_denorm_src 0
		.amdhsa_exception_fp_ieee_div_zero 0
		.amdhsa_exception_fp_ieee_overflow 0
		.amdhsa_exception_fp_ieee_underflow 0
		.amdhsa_exception_fp_ieee_inexact 0
		.amdhsa_exception_int_div_zero 0
	.end_amdhsa_kernel
	.section	.text._Z6kernelI14subtract_rightLj256ELj3ELb0EJPfS1_jEEvDpT3_,"axG",@progbits,_Z6kernelI14subtract_rightLj256ELj3ELb0EJPfS1_jEEvDpT3_,comdat
.Lfunc_end67:
	.size	_Z6kernelI14subtract_rightLj256ELj3ELb0EJPfS1_jEEvDpT3_, .Lfunc_end67-_Z6kernelI14subtract_rightLj256ELj3ELb0EJPfS1_jEEvDpT3_
                                        ; -- End function
	.set _Z6kernelI14subtract_rightLj256ELj3ELb0EJPfS1_jEEvDpT3_.num_vgpr, 7
	.set _Z6kernelI14subtract_rightLj256ELj3ELb0EJPfS1_jEEvDpT3_.num_agpr, 0
	.set _Z6kernelI14subtract_rightLj256ELj3ELb0EJPfS1_jEEvDpT3_.numbered_sgpr, 8
	.set _Z6kernelI14subtract_rightLj256ELj3ELb0EJPfS1_jEEvDpT3_.num_named_barrier, 0
	.set _Z6kernelI14subtract_rightLj256ELj3ELb0EJPfS1_jEEvDpT3_.private_seg_size, 0
	.set _Z6kernelI14subtract_rightLj256ELj3ELb0EJPfS1_jEEvDpT3_.uses_vcc, 1
	.set _Z6kernelI14subtract_rightLj256ELj3ELb0EJPfS1_jEEvDpT3_.uses_flat_scratch, 0
	.set _Z6kernelI14subtract_rightLj256ELj3ELb0EJPfS1_jEEvDpT3_.has_dyn_sized_stack, 0
	.set _Z6kernelI14subtract_rightLj256ELj3ELb0EJPfS1_jEEvDpT3_.has_recursion, 0
	.set _Z6kernelI14subtract_rightLj256ELj3ELb0EJPfS1_jEEvDpT3_.has_indirect_call, 0
	.section	.AMDGPU.csdata,"",@progbits
; Kernel info:
; codeLenInByte = 292
; TotalNumSgprs: 10
; NumVgprs: 7
; ScratchSize: 0
; MemoryBound: 0
; FloatMode: 240
; IeeeMode: 1
; LDSByteSize: 2048 bytes/workgroup (compile time only)
; SGPRBlocks: 0
; VGPRBlocks: 0
; NumSGPRsForWavesPerEU: 10
; NumVGPRsForWavesPerEU: 7
; Occupancy: 16
; WaveLimiterHint : 1
; COMPUTE_PGM_RSRC2:SCRATCH_EN: 0
; COMPUTE_PGM_RSRC2:USER_SGPR: 2
; COMPUTE_PGM_RSRC2:TRAP_HANDLER: 0
; COMPUTE_PGM_RSRC2:TGID_X_EN: 1
; COMPUTE_PGM_RSRC2:TGID_Y_EN: 0
; COMPUTE_PGM_RSRC2:TGID_Z_EN: 0
; COMPUTE_PGM_RSRC2:TIDIG_COMP_CNT: 0
	.section	.text._Z6kernelI14subtract_rightLj256ELj4ELb0EJPfS1_jEEvDpT3_,"axG",@progbits,_Z6kernelI14subtract_rightLj256ELj4ELb0EJPfS1_jEEvDpT3_,comdat
	.protected	_Z6kernelI14subtract_rightLj256ELj4ELb0EJPfS1_jEEvDpT3_ ; -- Begin function _Z6kernelI14subtract_rightLj256ELj4ELb0EJPfS1_jEEvDpT3_
	.globl	_Z6kernelI14subtract_rightLj256ELj4ELb0EJPfS1_jEEvDpT3_
	.p2align	8
	.type	_Z6kernelI14subtract_rightLj256ELj4ELb0EJPfS1_jEEvDpT3_,@function
_Z6kernelI14subtract_rightLj256ELj4ELb0EJPfS1_jEEvDpT3_: ; @_Z6kernelI14subtract_rightLj256ELj4ELb0EJPfS1_jEEvDpT3_
; %bb.0:
	s_load_b128 s[4:7], s[0:1], 0x0
	s_lshl_b32 s2, ttmp9, 10
	s_mov_b32 s3, 0
	v_lshlrev_b32_e32 v1, 2, v0
	s_lshl_b64 s[2:3], s[2:3], 2
	s_load_b32 s0, s[0:1], 0x10
	s_wait_kmcnt 0x0
	s_add_nc_u64 s[4:5], s[4:5], s[2:3]
	s_clause 0x3
	global_load_b32 v5, v1, s[4:5]
	global_load_b32 v4, v1, s[4:5] offset:1024
	global_load_b32 v3, v1, s[4:5] offset:2048
	;; [unrolled: 1-line block ×3, first 2 shown]
	s_cmp_eq_u32 s0, 0
	s_cbranch_scc1 .LBB68_5
; %bb.1:
	v_cmp_ne_u32_e32 vcc_lo, 0xff, v0
	s_branch .LBB68_3
.LBB68_2:                               ;   in Loop: Header=BB68_3 Depth=1
	s_or_b32 exec_lo, exec_lo, s1
	v_dual_sub_f32 v6, v5, v4 :: v_dual_sub_f32 v7, v4, v3
	v_sub_f32_e32 v8, v3, v2
	v_add_f32_e32 v2, v2, v0
	s_add_co_i32 s0, s0, -1
	s_delay_alu instid0(VALU_DEP_3) | instskip(NEXT) | instid1(VALU_DEP_3)
	v_dual_add_f32 v5, v5, v6 :: v_dual_add_f32 v4, v4, v7
	v_add_f32_e32 v3, v3, v8
	s_cmp_lg_u32 s0, 0
	s_wait_loadcnt 0x0
	s_barrier_signal -1
	s_barrier_wait -1
	global_inv scope:SCOPE_SE
	s_cbranch_scc0 .LBB68_5
.LBB68_3:                               ; =>This Inner Loop Header: Depth=1
	s_wait_loadcnt 0x0
	v_mov_b32_e32 v0, v2
	ds_store_b32 v1, v5 offset:1024
	s_wait_dscnt 0x0
	s_barrier_signal -1
	s_barrier_wait -1
	global_inv scope:SCOPE_SE
	s_and_saveexec_b32 s1, vcc_lo
	s_cbranch_execz .LBB68_2
; %bb.4:                                ;   in Loop: Header=BB68_3 Depth=1
	ds_load_b32 v0, v1 offset:1028
	s_wait_dscnt 0x0
	v_sub_f32_e32 v0, v2, v0
	s_branch .LBB68_2
.LBB68_5:
	s_add_nc_u64 s[0:1], s[6:7], s[2:3]
	s_wait_loadcnt 0x3
	global_store_b32 v1, v5, s[0:1]
	s_wait_loadcnt 0x2
	global_store_b32 v1, v4, s[0:1] offset:1024
	s_wait_loadcnt 0x1
	global_store_b32 v1, v3, s[0:1] offset:2048
	;; [unrolled: 2-line block ×3, first 2 shown]
	s_endpgm
	.section	.rodata,"a",@progbits
	.p2align	6, 0x0
	.amdhsa_kernel _Z6kernelI14subtract_rightLj256ELj4ELb0EJPfS1_jEEvDpT3_
		.amdhsa_group_segment_fixed_size 2048
		.amdhsa_private_segment_fixed_size 0
		.amdhsa_kernarg_size 20
		.amdhsa_user_sgpr_count 2
		.amdhsa_user_sgpr_dispatch_ptr 0
		.amdhsa_user_sgpr_queue_ptr 0
		.amdhsa_user_sgpr_kernarg_segment_ptr 1
		.amdhsa_user_sgpr_dispatch_id 0
		.amdhsa_user_sgpr_private_segment_size 0
		.amdhsa_wavefront_size32 1
		.amdhsa_uses_dynamic_stack 0
		.amdhsa_enable_private_segment 0
		.amdhsa_system_sgpr_workgroup_id_x 1
		.amdhsa_system_sgpr_workgroup_id_y 0
		.amdhsa_system_sgpr_workgroup_id_z 0
		.amdhsa_system_sgpr_workgroup_info 0
		.amdhsa_system_vgpr_workitem_id 0
		.amdhsa_next_free_vgpr 9
		.amdhsa_next_free_sgpr 8
		.amdhsa_reserve_vcc 1
		.amdhsa_float_round_mode_32 0
		.amdhsa_float_round_mode_16_64 0
		.amdhsa_float_denorm_mode_32 3
		.amdhsa_float_denorm_mode_16_64 3
		.amdhsa_fp16_overflow 0
		.amdhsa_workgroup_processor_mode 1
		.amdhsa_memory_ordered 1
		.amdhsa_forward_progress 1
		.amdhsa_inst_pref_size 3
		.amdhsa_round_robin_scheduling 0
		.amdhsa_exception_fp_ieee_invalid_op 0
		.amdhsa_exception_fp_denorm_src 0
		.amdhsa_exception_fp_ieee_div_zero 0
		.amdhsa_exception_fp_ieee_overflow 0
		.amdhsa_exception_fp_ieee_underflow 0
		.amdhsa_exception_fp_ieee_inexact 0
		.amdhsa_exception_int_div_zero 0
	.end_amdhsa_kernel
	.section	.text._Z6kernelI14subtract_rightLj256ELj4ELb0EJPfS1_jEEvDpT3_,"axG",@progbits,_Z6kernelI14subtract_rightLj256ELj4ELb0EJPfS1_jEEvDpT3_,comdat
.Lfunc_end68:
	.size	_Z6kernelI14subtract_rightLj256ELj4ELb0EJPfS1_jEEvDpT3_, .Lfunc_end68-_Z6kernelI14subtract_rightLj256ELj4ELb0EJPfS1_jEEvDpT3_
                                        ; -- End function
	.set _Z6kernelI14subtract_rightLj256ELj4ELb0EJPfS1_jEEvDpT3_.num_vgpr, 9
	.set _Z6kernelI14subtract_rightLj256ELj4ELb0EJPfS1_jEEvDpT3_.num_agpr, 0
	.set _Z6kernelI14subtract_rightLj256ELj4ELb0EJPfS1_jEEvDpT3_.numbered_sgpr, 8
	.set _Z6kernelI14subtract_rightLj256ELj4ELb0EJPfS1_jEEvDpT3_.num_named_barrier, 0
	.set _Z6kernelI14subtract_rightLj256ELj4ELb0EJPfS1_jEEvDpT3_.private_seg_size, 0
	.set _Z6kernelI14subtract_rightLj256ELj4ELb0EJPfS1_jEEvDpT3_.uses_vcc, 1
	.set _Z6kernelI14subtract_rightLj256ELj4ELb0EJPfS1_jEEvDpT3_.uses_flat_scratch, 0
	.set _Z6kernelI14subtract_rightLj256ELj4ELb0EJPfS1_jEEvDpT3_.has_dyn_sized_stack, 0
	.set _Z6kernelI14subtract_rightLj256ELj4ELb0EJPfS1_jEEvDpT3_.has_recursion, 0
	.set _Z6kernelI14subtract_rightLj256ELj4ELb0EJPfS1_jEEvDpT3_.has_indirect_call, 0
	.section	.AMDGPU.csdata,"",@progbits
; Kernel info:
; codeLenInByte = 324
; TotalNumSgprs: 10
; NumVgprs: 9
; ScratchSize: 0
; MemoryBound: 0
; FloatMode: 240
; IeeeMode: 1
; LDSByteSize: 2048 bytes/workgroup (compile time only)
; SGPRBlocks: 0
; VGPRBlocks: 1
; NumSGPRsForWavesPerEU: 10
; NumVGPRsForWavesPerEU: 9
; Occupancy: 16
; WaveLimiterHint : 1
; COMPUTE_PGM_RSRC2:SCRATCH_EN: 0
; COMPUTE_PGM_RSRC2:USER_SGPR: 2
; COMPUTE_PGM_RSRC2:TRAP_HANDLER: 0
; COMPUTE_PGM_RSRC2:TGID_X_EN: 1
; COMPUTE_PGM_RSRC2:TGID_Y_EN: 0
; COMPUTE_PGM_RSRC2:TGID_Z_EN: 0
; COMPUTE_PGM_RSRC2:TIDIG_COMP_CNT: 0
	.section	.text._Z6kernelI14subtract_rightLj256ELj8ELb0EJPfS1_jEEvDpT3_,"axG",@progbits,_Z6kernelI14subtract_rightLj256ELj8ELb0EJPfS1_jEEvDpT3_,comdat
	.protected	_Z6kernelI14subtract_rightLj256ELj8ELb0EJPfS1_jEEvDpT3_ ; -- Begin function _Z6kernelI14subtract_rightLj256ELj8ELb0EJPfS1_jEEvDpT3_
	.globl	_Z6kernelI14subtract_rightLj256ELj8ELb0EJPfS1_jEEvDpT3_
	.p2align	8
	.type	_Z6kernelI14subtract_rightLj256ELj8ELb0EJPfS1_jEEvDpT3_,@function
_Z6kernelI14subtract_rightLj256ELj8ELb0EJPfS1_jEEvDpT3_: ; @_Z6kernelI14subtract_rightLj256ELj8ELb0EJPfS1_jEEvDpT3_
; %bb.0:
	s_load_b128 s[4:7], s[0:1], 0x0
	s_lshl_b32 s2, ttmp9, 11
	s_mov_b32 s3, 0
	v_lshlrev_b32_e32 v1, 2, v0
	s_lshl_b64 s[2:3], s[2:3], 2
	s_load_b32 s0, s[0:1], 0x10
	s_wait_kmcnt 0x0
	s_add_nc_u64 s[4:5], s[4:5], s[2:3]
	s_clause 0x7
	global_load_b32 v9, v1, s[4:5]
	global_load_b32 v8, v1, s[4:5] offset:1024
	global_load_b32 v7, v1, s[4:5] offset:2048
	;; [unrolled: 1-line block ×7, first 2 shown]
	s_cmp_eq_u32 s0, 0
	s_cbranch_scc1 .LBB69_5
; %bb.1:
	v_cmp_ne_u32_e32 vcc_lo, 0xff, v0
	s_branch .LBB69_3
.LBB69_2:                               ;   in Loop: Header=BB69_3 Depth=1
	s_or_b32 exec_lo, exec_lo, s1
	v_dual_sub_f32 v10, v9, v8 :: v_dual_sub_f32 v11, v8, v7
	v_dual_sub_f32 v12, v7, v6 :: v_dual_sub_f32 v13, v6, v5
	;; [unrolled: 1-line block ×3, first 2 shown]
	v_sub_f32_e32 v16, v3, v2
	s_delay_alu instid0(VALU_DEP_4) | instskip(NEXT) | instid1(VALU_DEP_4)
	v_dual_add_f32 v9, v9, v10 :: v_dual_add_f32 v8, v8, v11
	v_dual_add_f32 v7, v7, v12 :: v_dual_add_f32 v6, v6, v13
	s_delay_alu instid0(VALU_DEP_4) | instskip(NEXT) | instid1(VALU_DEP_4)
	v_dual_add_f32 v5, v5, v14 :: v_dual_add_f32 v4, v4, v15
	v_add_f32_e32 v3, v3, v16
	v_add_f32_e32 v2, v2, v0
	s_add_co_i32 s0, s0, -1
	s_wait_loadcnt 0x0
	s_cmp_lg_u32 s0, 0
	s_barrier_signal -1
	s_barrier_wait -1
	global_inv scope:SCOPE_SE
	s_cbranch_scc0 .LBB69_5
.LBB69_3:                               ; =>This Inner Loop Header: Depth=1
	s_wait_loadcnt 0x0
	v_mov_b32_e32 v0, v2
	ds_store_b32 v1, v9 offset:1024
	s_wait_dscnt 0x0
	s_barrier_signal -1
	s_barrier_wait -1
	global_inv scope:SCOPE_SE
	s_and_saveexec_b32 s1, vcc_lo
	s_cbranch_execz .LBB69_2
; %bb.4:                                ;   in Loop: Header=BB69_3 Depth=1
	ds_load_b32 v0, v1 offset:1028
	s_wait_dscnt 0x0
	v_sub_f32_e32 v0, v2, v0
	s_branch .LBB69_2
.LBB69_5:
	s_add_nc_u64 s[0:1], s[6:7], s[2:3]
	s_wait_loadcnt 0x7
	global_store_b32 v1, v9, s[0:1]
	s_wait_loadcnt 0x6
	global_store_b32 v1, v8, s[0:1] offset:1024
	s_wait_loadcnt 0x5
	global_store_b32 v1, v7, s[0:1] offset:2048
	;; [unrolled: 2-line block ×7, first 2 shown]
	s_endpgm
	.section	.rodata,"a",@progbits
	.p2align	6, 0x0
	.amdhsa_kernel _Z6kernelI14subtract_rightLj256ELj8ELb0EJPfS1_jEEvDpT3_
		.amdhsa_group_segment_fixed_size 2048
		.amdhsa_private_segment_fixed_size 0
		.amdhsa_kernarg_size 20
		.amdhsa_user_sgpr_count 2
		.amdhsa_user_sgpr_dispatch_ptr 0
		.amdhsa_user_sgpr_queue_ptr 0
		.amdhsa_user_sgpr_kernarg_segment_ptr 1
		.amdhsa_user_sgpr_dispatch_id 0
		.amdhsa_user_sgpr_private_segment_size 0
		.amdhsa_wavefront_size32 1
		.amdhsa_uses_dynamic_stack 0
		.amdhsa_enable_private_segment 0
		.amdhsa_system_sgpr_workgroup_id_x 1
		.amdhsa_system_sgpr_workgroup_id_y 0
		.amdhsa_system_sgpr_workgroup_id_z 0
		.amdhsa_system_sgpr_workgroup_info 0
		.amdhsa_system_vgpr_workitem_id 0
		.amdhsa_next_free_vgpr 17
		.amdhsa_next_free_sgpr 8
		.amdhsa_reserve_vcc 1
		.amdhsa_float_round_mode_32 0
		.amdhsa_float_round_mode_16_64 0
		.amdhsa_float_denorm_mode_32 3
		.amdhsa_float_denorm_mode_16_64 3
		.amdhsa_fp16_overflow 0
		.amdhsa_workgroup_processor_mode 1
		.amdhsa_memory_ordered 1
		.amdhsa_forward_progress 1
		.amdhsa_inst_pref_size 4
		.amdhsa_round_robin_scheduling 0
		.amdhsa_exception_fp_ieee_invalid_op 0
		.amdhsa_exception_fp_denorm_src 0
		.amdhsa_exception_fp_ieee_div_zero 0
		.amdhsa_exception_fp_ieee_overflow 0
		.amdhsa_exception_fp_ieee_underflow 0
		.amdhsa_exception_fp_ieee_inexact 0
		.amdhsa_exception_int_div_zero 0
	.end_amdhsa_kernel
	.section	.text._Z6kernelI14subtract_rightLj256ELj8ELb0EJPfS1_jEEvDpT3_,"axG",@progbits,_Z6kernelI14subtract_rightLj256ELj8ELb0EJPfS1_jEEvDpT3_,comdat
.Lfunc_end69:
	.size	_Z6kernelI14subtract_rightLj256ELj8ELb0EJPfS1_jEEvDpT3_, .Lfunc_end69-_Z6kernelI14subtract_rightLj256ELj8ELb0EJPfS1_jEEvDpT3_
                                        ; -- End function
	.set _Z6kernelI14subtract_rightLj256ELj8ELb0EJPfS1_jEEvDpT3_.num_vgpr, 17
	.set _Z6kernelI14subtract_rightLj256ELj8ELb0EJPfS1_jEEvDpT3_.num_agpr, 0
	.set _Z6kernelI14subtract_rightLj256ELj8ELb0EJPfS1_jEEvDpT3_.numbered_sgpr, 8
	.set _Z6kernelI14subtract_rightLj256ELj8ELb0EJPfS1_jEEvDpT3_.num_named_barrier, 0
	.set _Z6kernelI14subtract_rightLj256ELj8ELb0EJPfS1_jEEvDpT3_.private_seg_size, 0
	.set _Z6kernelI14subtract_rightLj256ELj8ELb0EJPfS1_jEEvDpT3_.uses_vcc, 1
	.set _Z6kernelI14subtract_rightLj256ELj8ELb0EJPfS1_jEEvDpT3_.uses_flat_scratch, 0
	.set _Z6kernelI14subtract_rightLj256ELj8ELb0EJPfS1_jEEvDpT3_.has_dyn_sized_stack, 0
	.set _Z6kernelI14subtract_rightLj256ELj8ELb0EJPfS1_jEEvDpT3_.has_recursion, 0
	.set _Z6kernelI14subtract_rightLj256ELj8ELb0EJPfS1_jEEvDpT3_.has_indirect_call, 0
	.section	.AMDGPU.csdata,"",@progbits
; Kernel info:
; codeLenInByte = 472
; TotalNumSgprs: 10
; NumVgprs: 17
; ScratchSize: 0
; MemoryBound: 0
; FloatMode: 240
; IeeeMode: 1
; LDSByteSize: 2048 bytes/workgroup (compile time only)
; SGPRBlocks: 0
; VGPRBlocks: 2
; NumSGPRsForWavesPerEU: 10
; NumVGPRsForWavesPerEU: 17
; Occupancy: 16
; WaveLimiterHint : 1
; COMPUTE_PGM_RSRC2:SCRATCH_EN: 0
; COMPUTE_PGM_RSRC2:USER_SGPR: 2
; COMPUTE_PGM_RSRC2:TRAP_HANDLER: 0
; COMPUTE_PGM_RSRC2:TGID_X_EN: 1
; COMPUTE_PGM_RSRC2:TGID_Y_EN: 0
; COMPUTE_PGM_RSRC2:TGID_Z_EN: 0
; COMPUTE_PGM_RSRC2:TIDIG_COMP_CNT: 0
	.section	.text._Z6kernelI14subtract_rightLj256ELj16ELb0EJPfS1_jEEvDpT3_,"axG",@progbits,_Z6kernelI14subtract_rightLj256ELj16ELb0EJPfS1_jEEvDpT3_,comdat
	.protected	_Z6kernelI14subtract_rightLj256ELj16ELb0EJPfS1_jEEvDpT3_ ; -- Begin function _Z6kernelI14subtract_rightLj256ELj16ELb0EJPfS1_jEEvDpT3_
	.globl	_Z6kernelI14subtract_rightLj256ELj16ELb0EJPfS1_jEEvDpT3_
	.p2align	8
	.type	_Z6kernelI14subtract_rightLj256ELj16ELb0EJPfS1_jEEvDpT3_,@function
_Z6kernelI14subtract_rightLj256ELj16ELb0EJPfS1_jEEvDpT3_: ; @_Z6kernelI14subtract_rightLj256ELj16ELb0EJPfS1_jEEvDpT3_
; %bb.0:
	s_load_b128 s[4:7], s[0:1], 0x0
	s_lshl_b32 s2, ttmp9, 12
	s_mov_b32 s3, 0
	v_lshlrev_b32_e32 v1, 2, v0
	s_lshl_b64 s[2:3], s[2:3], 2
	s_load_b32 s0, s[0:1], 0x10
	s_wait_kmcnt 0x0
	s_add_nc_u64 s[4:5], s[4:5], s[2:3]
	s_clause 0xf
	global_load_b32 v17, v1, s[4:5]
	global_load_b32 v16, v1, s[4:5] offset:1024
	global_load_b32 v15, v1, s[4:5] offset:2048
	;; [unrolled: 1-line block ×15, first 2 shown]
	s_cmp_eq_u32 s0, 0
	s_cbranch_scc1 .LBB70_5
; %bb.1:
	v_cmp_ne_u32_e32 vcc_lo, 0xff, v0
	s_branch .LBB70_3
.LBB70_2:                               ;   in Loop: Header=BB70_3 Depth=1
	s_or_b32 exec_lo, exec_lo, s1
	v_dual_sub_f32 v18, v17, v16 :: v_dual_sub_f32 v19, v16, v15
	v_dual_sub_f32 v20, v15, v14 :: v_dual_sub_f32 v21, v14, v13
	;; [unrolled: 1-line block ×7, first 2 shown]
	v_sub_f32_e32 v32, v3, v2
	v_dual_add_f32 v17, v17, v18 :: v_dual_add_f32 v16, v16, v19
	v_dual_add_f32 v15, v15, v20 :: v_dual_add_f32 v14, v14, v21
	;; [unrolled: 1-line block ×7, first 2 shown]
	v_add_f32_e32 v3, v3, v32
	v_add_f32_e32 v2, v2, v0
	s_add_co_i32 s0, s0, -1
	s_wait_loadcnt 0x0
	s_cmp_lg_u32 s0, 0
	s_barrier_signal -1
	s_barrier_wait -1
	global_inv scope:SCOPE_SE
	s_cbranch_scc0 .LBB70_5
.LBB70_3:                               ; =>This Inner Loop Header: Depth=1
	s_wait_loadcnt 0x0
	v_mov_b32_e32 v0, v2
	ds_store_b32 v1, v17 offset:1024
	s_wait_dscnt 0x0
	s_barrier_signal -1
	s_barrier_wait -1
	global_inv scope:SCOPE_SE
	s_and_saveexec_b32 s1, vcc_lo
	s_cbranch_execz .LBB70_2
; %bb.4:                                ;   in Loop: Header=BB70_3 Depth=1
	ds_load_b32 v0, v1 offset:1028
	s_wait_dscnt 0x0
	v_sub_f32_e32 v0, v2, v0
	s_branch .LBB70_2
.LBB70_5:
	s_add_nc_u64 s[0:1], s[6:7], s[2:3]
	s_wait_loadcnt 0xf
	global_store_b32 v1, v17, s[0:1]
	s_wait_loadcnt 0xe
	global_store_b32 v1, v16, s[0:1] offset:1024
	s_wait_loadcnt 0xd
	global_store_b32 v1, v15, s[0:1] offset:2048
	;; [unrolled: 2-line block ×15, first 2 shown]
	s_endpgm
	.section	.rodata,"a",@progbits
	.p2align	6, 0x0
	.amdhsa_kernel _Z6kernelI14subtract_rightLj256ELj16ELb0EJPfS1_jEEvDpT3_
		.amdhsa_group_segment_fixed_size 2048
		.amdhsa_private_segment_fixed_size 0
		.amdhsa_kernarg_size 20
		.amdhsa_user_sgpr_count 2
		.amdhsa_user_sgpr_dispatch_ptr 0
		.amdhsa_user_sgpr_queue_ptr 0
		.amdhsa_user_sgpr_kernarg_segment_ptr 1
		.amdhsa_user_sgpr_dispatch_id 0
		.amdhsa_user_sgpr_private_segment_size 0
		.amdhsa_wavefront_size32 1
		.amdhsa_uses_dynamic_stack 0
		.amdhsa_enable_private_segment 0
		.amdhsa_system_sgpr_workgroup_id_x 1
		.amdhsa_system_sgpr_workgroup_id_y 0
		.amdhsa_system_sgpr_workgroup_id_z 0
		.amdhsa_system_sgpr_workgroup_info 0
		.amdhsa_system_vgpr_workitem_id 0
		.amdhsa_next_free_vgpr 33
		.amdhsa_next_free_sgpr 8
		.amdhsa_reserve_vcc 1
		.amdhsa_float_round_mode_32 0
		.amdhsa_float_round_mode_16_64 0
		.amdhsa_float_denorm_mode_32 3
		.amdhsa_float_denorm_mode_16_64 3
		.amdhsa_fp16_overflow 0
		.amdhsa_workgroup_processor_mode 1
		.amdhsa_memory_ordered 1
		.amdhsa_forward_progress 1
		.amdhsa_inst_pref_size 6
		.amdhsa_round_robin_scheduling 0
		.amdhsa_exception_fp_ieee_invalid_op 0
		.amdhsa_exception_fp_denorm_src 0
		.amdhsa_exception_fp_ieee_div_zero 0
		.amdhsa_exception_fp_ieee_overflow 0
		.amdhsa_exception_fp_ieee_underflow 0
		.amdhsa_exception_fp_ieee_inexact 0
		.amdhsa_exception_int_div_zero 0
	.end_amdhsa_kernel
	.section	.text._Z6kernelI14subtract_rightLj256ELj16ELb0EJPfS1_jEEvDpT3_,"axG",@progbits,_Z6kernelI14subtract_rightLj256ELj16ELb0EJPfS1_jEEvDpT3_,comdat
.Lfunc_end70:
	.size	_Z6kernelI14subtract_rightLj256ELj16ELb0EJPfS1_jEEvDpT3_, .Lfunc_end70-_Z6kernelI14subtract_rightLj256ELj16ELb0EJPfS1_jEEvDpT3_
                                        ; -- End function
	.set _Z6kernelI14subtract_rightLj256ELj16ELb0EJPfS1_jEEvDpT3_.num_vgpr, 33
	.set _Z6kernelI14subtract_rightLj256ELj16ELb0EJPfS1_jEEvDpT3_.num_agpr, 0
	.set _Z6kernelI14subtract_rightLj256ELj16ELb0EJPfS1_jEEvDpT3_.numbered_sgpr, 8
	.set _Z6kernelI14subtract_rightLj256ELj16ELb0EJPfS1_jEEvDpT3_.num_named_barrier, 0
	.set _Z6kernelI14subtract_rightLj256ELj16ELb0EJPfS1_jEEvDpT3_.private_seg_size, 0
	.set _Z6kernelI14subtract_rightLj256ELj16ELb0EJPfS1_jEEvDpT3_.uses_vcc, 1
	.set _Z6kernelI14subtract_rightLj256ELj16ELb0EJPfS1_jEEvDpT3_.uses_flat_scratch, 0
	.set _Z6kernelI14subtract_rightLj256ELj16ELb0EJPfS1_jEEvDpT3_.has_dyn_sized_stack, 0
	.set _Z6kernelI14subtract_rightLj256ELj16ELb0EJPfS1_jEEvDpT3_.has_recursion, 0
	.set _Z6kernelI14subtract_rightLj256ELj16ELb0EJPfS1_jEEvDpT3_.has_indirect_call, 0
	.section	.AMDGPU.csdata,"",@progbits
; Kernel info:
; codeLenInByte = 752
; TotalNumSgprs: 10
; NumVgprs: 33
; ScratchSize: 0
; MemoryBound: 0
; FloatMode: 240
; IeeeMode: 1
; LDSByteSize: 2048 bytes/workgroup (compile time only)
; SGPRBlocks: 0
; VGPRBlocks: 4
; NumSGPRsForWavesPerEU: 10
; NumVGPRsForWavesPerEU: 33
; Occupancy: 16
; WaveLimiterHint : 1
; COMPUTE_PGM_RSRC2:SCRATCH_EN: 0
; COMPUTE_PGM_RSRC2:USER_SGPR: 2
; COMPUTE_PGM_RSRC2:TRAP_HANDLER: 0
; COMPUTE_PGM_RSRC2:TGID_X_EN: 1
; COMPUTE_PGM_RSRC2:TGID_Y_EN: 0
; COMPUTE_PGM_RSRC2:TGID_Z_EN: 0
; COMPUTE_PGM_RSRC2:TIDIG_COMP_CNT: 0
	.section	.text._Z6kernelI14subtract_rightLj256ELj32ELb0EJPfS1_jEEvDpT3_,"axG",@progbits,_Z6kernelI14subtract_rightLj256ELj32ELb0EJPfS1_jEEvDpT3_,comdat
	.protected	_Z6kernelI14subtract_rightLj256ELj32ELb0EJPfS1_jEEvDpT3_ ; -- Begin function _Z6kernelI14subtract_rightLj256ELj32ELb0EJPfS1_jEEvDpT3_
	.globl	_Z6kernelI14subtract_rightLj256ELj32ELb0EJPfS1_jEEvDpT3_
	.p2align	8
	.type	_Z6kernelI14subtract_rightLj256ELj32ELb0EJPfS1_jEEvDpT3_,@function
_Z6kernelI14subtract_rightLj256ELj32ELb0EJPfS1_jEEvDpT3_: ; @_Z6kernelI14subtract_rightLj256ELj32ELb0EJPfS1_jEEvDpT3_
; %bb.0:
	s_load_b128 s[4:7], s[0:1], 0x0
	s_lshl_b32 s2, ttmp9, 13
	s_mov_b32 s3, 0
	v_lshlrev_b32_e32 v1, 2, v0
	s_lshl_b64 s[2:3], s[2:3], 2
	s_load_b32 s0, s[0:1], 0x10
	s_wait_kmcnt 0x0
	s_add_nc_u64 s[4:5], s[4:5], s[2:3]
	s_clause 0x1f
	global_load_b32 v33, v1, s[4:5]
	global_load_b32 v32, v1, s[4:5] offset:1024
	global_load_b32 v31, v1, s[4:5] offset:2048
	;; [unrolled: 1-line block ×31, first 2 shown]
	s_cmp_eq_u32 s0, 0
	s_cbranch_scc1 .LBB71_5
; %bb.1:
	v_cmp_ne_u32_e32 vcc_lo, 0xff, v0
	s_branch .LBB71_3
.LBB71_2:                               ;   in Loop: Header=BB71_3 Depth=1
	s_or_b32 exec_lo, exec_lo, s1
	v_dual_sub_f32 v34, v33, v32 :: v_dual_sub_f32 v35, v32, v31
	v_dual_sub_f32 v36, v31, v30 :: v_dual_sub_f32 v37, v30, v29
	;; [unrolled: 1-line block ×15, first 2 shown]
	v_sub_f32_e32 v64, v3, v2
	v_dual_add_f32 v33, v33, v34 :: v_dual_add_f32 v32, v32, v35
	v_dual_add_f32 v31, v31, v36 :: v_dual_add_f32 v30, v30, v37
	;; [unrolled: 1-line block ×15, first 2 shown]
	v_add_f32_e32 v3, v3, v64
	v_add_f32_e32 v2, v2, v0
	s_add_co_i32 s0, s0, -1
	s_wait_loadcnt 0x0
	s_cmp_lg_u32 s0, 0
	s_barrier_signal -1
	s_barrier_wait -1
	global_inv scope:SCOPE_SE
	s_cbranch_scc0 .LBB71_5
.LBB71_3:                               ; =>This Inner Loop Header: Depth=1
	s_wait_loadcnt 0x0
	v_mov_b32_e32 v0, v2
	ds_store_b32 v1, v33 offset:1024
	s_wait_dscnt 0x0
	s_barrier_signal -1
	s_barrier_wait -1
	global_inv scope:SCOPE_SE
	s_and_saveexec_b32 s1, vcc_lo
	s_cbranch_execz .LBB71_2
; %bb.4:                                ;   in Loop: Header=BB71_3 Depth=1
	ds_load_b32 v0, v1 offset:1028
	s_wait_dscnt 0x0
	v_sub_f32_e32 v0, v2, v0
	s_branch .LBB71_2
.LBB71_5:
	s_add_nc_u64 s[0:1], s[6:7], s[2:3]
	s_wait_loadcnt 0x1f
	global_store_b32 v1, v33, s[0:1]
	s_wait_loadcnt 0x1e
	global_store_b32 v1, v32, s[0:1] offset:1024
	s_wait_loadcnt 0x1d
	global_store_b32 v1, v31, s[0:1] offset:2048
	;; [unrolled: 2-line block ×31, first 2 shown]
	s_endpgm
	.section	.rodata,"a",@progbits
	.p2align	6, 0x0
	.amdhsa_kernel _Z6kernelI14subtract_rightLj256ELj32ELb0EJPfS1_jEEvDpT3_
		.amdhsa_group_segment_fixed_size 2048
		.amdhsa_private_segment_fixed_size 0
		.amdhsa_kernarg_size 20
		.amdhsa_user_sgpr_count 2
		.amdhsa_user_sgpr_dispatch_ptr 0
		.amdhsa_user_sgpr_queue_ptr 0
		.amdhsa_user_sgpr_kernarg_segment_ptr 1
		.amdhsa_user_sgpr_dispatch_id 0
		.amdhsa_user_sgpr_private_segment_size 0
		.amdhsa_wavefront_size32 1
		.amdhsa_uses_dynamic_stack 0
		.amdhsa_enable_private_segment 0
		.amdhsa_system_sgpr_workgroup_id_x 1
		.amdhsa_system_sgpr_workgroup_id_y 0
		.amdhsa_system_sgpr_workgroup_id_z 0
		.amdhsa_system_sgpr_workgroup_info 0
		.amdhsa_system_vgpr_workitem_id 0
		.amdhsa_next_free_vgpr 65
		.amdhsa_next_free_sgpr 8
		.amdhsa_reserve_vcc 1
		.amdhsa_float_round_mode_32 0
		.amdhsa_float_round_mode_16_64 0
		.amdhsa_float_denorm_mode_32 3
		.amdhsa_float_denorm_mode_16_64 3
		.amdhsa_fp16_overflow 0
		.amdhsa_workgroup_processor_mode 1
		.amdhsa_memory_ordered 1
		.amdhsa_forward_progress 1
		.amdhsa_inst_pref_size 11
		.amdhsa_round_robin_scheduling 0
		.amdhsa_exception_fp_ieee_invalid_op 0
		.amdhsa_exception_fp_denorm_src 0
		.amdhsa_exception_fp_ieee_div_zero 0
		.amdhsa_exception_fp_ieee_overflow 0
		.amdhsa_exception_fp_ieee_underflow 0
		.amdhsa_exception_fp_ieee_inexact 0
		.amdhsa_exception_int_div_zero 0
	.end_amdhsa_kernel
	.section	.text._Z6kernelI14subtract_rightLj256ELj32ELb0EJPfS1_jEEvDpT3_,"axG",@progbits,_Z6kernelI14subtract_rightLj256ELj32ELb0EJPfS1_jEEvDpT3_,comdat
.Lfunc_end71:
	.size	_Z6kernelI14subtract_rightLj256ELj32ELb0EJPfS1_jEEvDpT3_, .Lfunc_end71-_Z6kernelI14subtract_rightLj256ELj32ELb0EJPfS1_jEEvDpT3_
                                        ; -- End function
	.set _Z6kernelI14subtract_rightLj256ELj32ELb0EJPfS1_jEEvDpT3_.num_vgpr, 65
	.set _Z6kernelI14subtract_rightLj256ELj32ELb0EJPfS1_jEEvDpT3_.num_agpr, 0
	.set _Z6kernelI14subtract_rightLj256ELj32ELb0EJPfS1_jEEvDpT3_.numbered_sgpr, 8
	.set _Z6kernelI14subtract_rightLj256ELj32ELb0EJPfS1_jEEvDpT3_.num_named_barrier, 0
	.set _Z6kernelI14subtract_rightLj256ELj32ELb0EJPfS1_jEEvDpT3_.private_seg_size, 0
	.set _Z6kernelI14subtract_rightLj256ELj32ELb0EJPfS1_jEEvDpT3_.uses_vcc, 1
	.set _Z6kernelI14subtract_rightLj256ELj32ELb0EJPfS1_jEEvDpT3_.uses_flat_scratch, 0
	.set _Z6kernelI14subtract_rightLj256ELj32ELb0EJPfS1_jEEvDpT3_.has_dyn_sized_stack, 0
	.set _Z6kernelI14subtract_rightLj256ELj32ELb0EJPfS1_jEEvDpT3_.has_recursion, 0
	.set _Z6kernelI14subtract_rightLj256ELj32ELb0EJPfS1_jEEvDpT3_.has_indirect_call, 0
	.section	.AMDGPU.csdata,"",@progbits
; Kernel info:
; codeLenInByte = 1328
; TotalNumSgprs: 10
; NumVgprs: 65
; ScratchSize: 0
; MemoryBound: 0
; FloatMode: 240
; IeeeMode: 1
; LDSByteSize: 2048 bytes/workgroup (compile time only)
; SGPRBlocks: 0
; VGPRBlocks: 8
; NumSGPRsForWavesPerEU: 10
; NumVGPRsForWavesPerEU: 65
; Occupancy: 16
; WaveLimiterHint : 1
; COMPUTE_PGM_RSRC2:SCRATCH_EN: 0
; COMPUTE_PGM_RSRC2:USER_SGPR: 2
; COMPUTE_PGM_RSRC2:TRAP_HANDLER: 0
; COMPUTE_PGM_RSRC2:TGID_X_EN: 1
; COMPUTE_PGM_RSRC2:TGID_Y_EN: 0
; COMPUTE_PGM_RSRC2:TGID_Z_EN: 0
; COMPUTE_PGM_RSRC2:TIDIG_COMP_CNT: 0
	.section	.text._Z6kernelI14subtract_rightLj256ELj1ELb0EJPaS1_jEEvDpT3_,"axG",@progbits,_Z6kernelI14subtract_rightLj256ELj1ELb0EJPaS1_jEEvDpT3_,comdat
	.protected	_Z6kernelI14subtract_rightLj256ELj1ELb0EJPaS1_jEEvDpT3_ ; -- Begin function _Z6kernelI14subtract_rightLj256ELj1ELb0EJPaS1_jEEvDpT3_
	.globl	_Z6kernelI14subtract_rightLj256ELj1ELb0EJPaS1_jEEvDpT3_
	.p2align	8
	.type	_Z6kernelI14subtract_rightLj256ELj1ELb0EJPaS1_jEEvDpT3_,@function
_Z6kernelI14subtract_rightLj256ELj1ELb0EJPaS1_jEEvDpT3_: ; @_Z6kernelI14subtract_rightLj256ELj1ELb0EJPaS1_jEEvDpT3_
; %bb.0:
	s_load_b128 s[4:7], s[0:1], 0x0
	s_lshl_b32 s2, ttmp9, 8
	s_mov_b32 s3, 0
	s_load_b32 s0, s[0:1], 0x10
	s_wait_kmcnt 0x0
	s_add_nc_u64 s[4:5], s[4:5], s[2:3]
	global_load_u8 v1, v0, s[4:5]
	s_cmp_eq_u32 s0, 0
	s_cbranch_scc1 .LBB72_5
; %bb.1:
	v_cmp_ne_u32_e32 vcc_lo, 0xff, v0
	s_branch .LBB72_3
.LBB72_2:                               ;   in Loop: Header=BB72_3 Depth=1
	s_or_b32 exec_lo, exec_lo, s1
	s_delay_alu instid0(VALU_DEP_1)
	v_add_nc_u16 v1, v2, v1
	s_add_co_i32 s0, s0, -1
	s_wait_loadcnt 0x0
	s_cmp_lg_u32 s0, 0
	s_barrier_signal -1
	s_barrier_wait -1
	global_inv scope:SCOPE_SE
	s_cbranch_scc0 .LBB72_5
.LBB72_3:                               ; =>This Inner Loop Header: Depth=1
	s_wait_loadcnt 0x0
	v_mov_b32_e32 v2, v1
	ds_store_b8 v0, v1 offset:256
	s_wait_dscnt 0x0
	s_barrier_signal -1
	s_barrier_wait -1
	global_inv scope:SCOPE_SE
	s_and_saveexec_b32 s1, vcc_lo
	s_cbranch_execz .LBB72_2
; %bb.4:                                ;   in Loop: Header=BB72_3 Depth=1
	ds_load_u8 v2, v0 offset:257
	s_wait_dscnt 0x0
	v_sub_nc_u16 v2, v1, v2
	s_branch .LBB72_2
.LBB72_5:
	s_add_nc_u64 s[0:1], s[6:7], s[2:3]
	s_delay_alu instid0(SALU_CYCLE_1)
	v_add_co_u32 v2, s0, s0, v0
	s_wait_alu 0xf1ff
	v_add_co_ci_u32_e64 v3, null, s1, 0, s0
	s_wait_loadcnt 0x0
	global_store_b8 v[2:3], v1, off
	s_endpgm
	.section	.rodata,"a",@progbits
	.p2align	6, 0x0
	.amdhsa_kernel _Z6kernelI14subtract_rightLj256ELj1ELb0EJPaS1_jEEvDpT3_
		.amdhsa_group_segment_fixed_size 512
		.amdhsa_private_segment_fixed_size 0
		.amdhsa_kernarg_size 20
		.amdhsa_user_sgpr_count 2
		.amdhsa_user_sgpr_dispatch_ptr 0
		.amdhsa_user_sgpr_queue_ptr 0
		.amdhsa_user_sgpr_kernarg_segment_ptr 1
		.amdhsa_user_sgpr_dispatch_id 0
		.amdhsa_user_sgpr_private_segment_size 0
		.amdhsa_wavefront_size32 1
		.amdhsa_uses_dynamic_stack 0
		.amdhsa_enable_private_segment 0
		.amdhsa_system_sgpr_workgroup_id_x 1
		.amdhsa_system_sgpr_workgroup_id_y 0
		.amdhsa_system_sgpr_workgroup_id_z 0
		.amdhsa_system_sgpr_workgroup_info 0
		.amdhsa_system_vgpr_workitem_id 0
		.amdhsa_next_free_vgpr 4
		.amdhsa_next_free_sgpr 8
		.amdhsa_reserve_vcc 1
		.amdhsa_float_round_mode_32 0
		.amdhsa_float_round_mode_16_64 0
		.amdhsa_float_denorm_mode_32 3
		.amdhsa_float_denorm_mode_16_64 3
		.amdhsa_fp16_overflow 0
		.amdhsa_workgroup_processor_mode 1
		.amdhsa_memory_ordered 1
		.amdhsa_forward_progress 1
		.amdhsa_inst_pref_size 2
		.amdhsa_round_robin_scheduling 0
		.amdhsa_exception_fp_ieee_invalid_op 0
		.amdhsa_exception_fp_denorm_src 0
		.amdhsa_exception_fp_ieee_div_zero 0
		.amdhsa_exception_fp_ieee_overflow 0
		.amdhsa_exception_fp_ieee_underflow 0
		.amdhsa_exception_fp_ieee_inexact 0
		.amdhsa_exception_int_div_zero 0
	.end_amdhsa_kernel
	.section	.text._Z6kernelI14subtract_rightLj256ELj1ELb0EJPaS1_jEEvDpT3_,"axG",@progbits,_Z6kernelI14subtract_rightLj256ELj1ELb0EJPaS1_jEEvDpT3_,comdat
.Lfunc_end72:
	.size	_Z6kernelI14subtract_rightLj256ELj1ELb0EJPaS1_jEEvDpT3_, .Lfunc_end72-_Z6kernelI14subtract_rightLj256ELj1ELb0EJPaS1_jEEvDpT3_
                                        ; -- End function
	.set _Z6kernelI14subtract_rightLj256ELj1ELb0EJPaS1_jEEvDpT3_.num_vgpr, 4
	.set _Z6kernelI14subtract_rightLj256ELj1ELb0EJPaS1_jEEvDpT3_.num_agpr, 0
	.set _Z6kernelI14subtract_rightLj256ELj1ELb0EJPaS1_jEEvDpT3_.numbered_sgpr, 8
	.set _Z6kernelI14subtract_rightLj256ELj1ELb0EJPaS1_jEEvDpT3_.num_named_barrier, 0
	.set _Z6kernelI14subtract_rightLj256ELj1ELb0EJPaS1_jEEvDpT3_.private_seg_size, 0
	.set _Z6kernelI14subtract_rightLj256ELj1ELb0EJPaS1_jEEvDpT3_.uses_vcc, 1
	.set _Z6kernelI14subtract_rightLj256ELj1ELb0EJPaS1_jEEvDpT3_.uses_flat_scratch, 0
	.set _Z6kernelI14subtract_rightLj256ELj1ELb0EJPaS1_jEEvDpT3_.has_dyn_sized_stack, 0
	.set _Z6kernelI14subtract_rightLj256ELj1ELb0EJPaS1_jEEvDpT3_.has_recursion, 0
	.set _Z6kernelI14subtract_rightLj256ELj1ELb0EJPaS1_jEEvDpT3_.has_indirect_call, 0
	.section	.AMDGPU.csdata,"",@progbits
; Kernel info:
; codeLenInByte = 236
; TotalNumSgprs: 10
; NumVgprs: 4
; ScratchSize: 0
; MemoryBound: 0
; FloatMode: 240
; IeeeMode: 1
; LDSByteSize: 512 bytes/workgroup (compile time only)
; SGPRBlocks: 0
; VGPRBlocks: 0
; NumSGPRsForWavesPerEU: 10
; NumVGPRsForWavesPerEU: 4
; Occupancy: 16
; WaveLimiterHint : 0
; COMPUTE_PGM_RSRC2:SCRATCH_EN: 0
; COMPUTE_PGM_RSRC2:USER_SGPR: 2
; COMPUTE_PGM_RSRC2:TRAP_HANDLER: 0
; COMPUTE_PGM_RSRC2:TGID_X_EN: 1
; COMPUTE_PGM_RSRC2:TGID_Y_EN: 0
; COMPUTE_PGM_RSRC2:TGID_Z_EN: 0
; COMPUTE_PGM_RSRC2:TIDIG_COMP_CNT: 0
	.section	.text._Z6kernelI14subtract_rightLj256ELj3ELb0EJPaS1_jEEvDpT3_,"axG",@progbits,_Z6kernelI14subtract_rightLj256ELj3ELb0EJPaS1_jEEvDpT3_,comdat
	.protected	_Z6kernelI14subtract_rightLj256ELj3ELb0EJPaS1_jEEvDpT3_ ; -- Begin function _Z6kernelI14subtract_rightLj256ELj3ELb0EJPaS1_jEEvDpT3_
	.globl	_Z6kernelI14subtract_rightLj256ELj3ELb0EJPaS1_jEEvDpT3_
	.p2align	8
	.type	_Z6kernelI14subtract_rightLj256ELj3ELb0EJPaS1_jEEvDpT3_,@function
_Z6kernelI14subtract_rightLj256ELj3ELb0EJPaS1_jEEvDpT3_: ; @_Z6kernelI14subtract_rightLj256ELj3ELb0EJPaS1_jEEvDpT3_
; %bb.0:
	s_load_b128 s[4:7], s[0:1], 0x0
	s_mul_i32 s2, ttmp9, 0x300
	s_mov_b32 s3, 0
	s_load_b32 s0, s[0:1], 0x10
	s_wait_kmcnt 0x0
	s_add_nc_u64 s[4:5], s[4:5], s[2:3]
	s_clause 0x2
	global_load_u8 v1, v0, s[4:5] offset:256
	global_load_u8 v2, v0, s[4:5] offset:512
	global_load_u8 v3, v0, s[4:5]
	s_cmp_eq_u32 s0, 0
	s_wait_loadcnt 0x0
	v_perm_b32 v1, v3, v1, 0xc0c0004
	s_delay_alu instid0(VALU_DEP_1)
	v_lshl_or_b32 v1, v2, 16, v1
	s_cbranch_scc1 .LBB73_5
; %bb.1:
	v_cmp_ne_u32_e32 vcc_lo, 0xff, v0
	s_branch .LBB73_3
.LBB73_2:                               ;   in Loop: Header=BB73_3 Depth=1
	s_or_b32 exec_lo, exec_lo, s1
	v_lshrrev_b32_e32 v4, 8, v1
	v_lshrrev_b16 v6, 8, v1
	s_add_co_i32 s0, s0, -1
	s_wait_loadcnt 0x0
	s_cmp_lg_u32 s0, 0
	v_sub_nc_u16 v5, v4, v2
	v_sub_nc_u16 v4, v1, v4
	v_add_nc_u16 v2, v3, v2
	s_barrier_signal -1
	s_barrier_wait -1
	v_lshlrev_b16 v7, 8, v5
	v_and_b32_e32 v5, 0xff, v5
	v_and_b32_e32 v4, 0xff, v4
	;; [unrolled: 1-line block ×3, first 2 shown]
	global_inv scope:SCOPE_SE
	v_add_nc_u16 v3, v5, v6
	v_or_b32_e32 v4, v4, v7
	v_lshlrev_b32_e32 v2, 16, v2
	s_delay_alu instid0(VALU_DEP_3) | instskip(NEXT) | instid1(VALU_DEP_3)
	v_lshlrev_b16 v3, 8, v3
	v_add_nc_u16 v1, v4, v1
	s_delay_alu instid0(VALU_DEP_1) | instskip(NEXT) | instid1(VALU_DEP_1)
	v_perm_b32 v1, v1, v3, 0xc0c0104
	v_or_b32_e32 v1, v1, v2
	s_cbranch_scc0 .LBB73_5
.LBB73_3:                               ; =>This Inner Loop Header: Depth=1
	s_delay_alu instid0(VALU_DEP_1)
	v_lshrrev_b32_e32 v2, 16, v1
	ds_store_b8 v0, v1 offset:256
	s_wait_dscnt 0x0
	s_barrier_signal -1
	s_barrier_wait -1
	v_mov_b32_e32 v3, v2
	global_inv scope:SCOPE_SE
	s_and_saveexec_b32 s1, vcc_lo
	s_cbranch_execz .LBB73_2
; %bb.4:                                ;   in Loop: Header=BB73_3 Depth=1
	ds_load_u8 v3, v0 offset:257
	s_wait_dscnt 0x0
	v_sub_nc_u16 v3, v2, v3
	s_branch .LBB73_2
.LBB73_5:
	s_add_nc_u64 s[0:1], s[6:7], s[2:3]
	s_delay_alu instid0(SALU_CYCLE_1)
	v_add_co_u32 v2, s0, s0, v0
	s_wait_alu 0xf1ff
	v_add_co_ci_u32_e64 v3, null, s1, 0, s0
	v_lshrrev_b32_e32 v0, 8, v1
	s_clause 0x2
	global_store_b8 v[2:3], v1, off
	global_store_b8 v[2:3], v0, off offset:256
	global_store_d16_hi_b8 v[2:3], v1, off offset:512
	s_endpgm
	.section	.rodata,"a",@progbits
	.p2align	6, 0x0
	.amdhsa_kernel _Z6kernelI14subtract_rightLj256ELj3ELb0EJPaS1_jEEvDpT3_
		.amdhsa_group_segment_fixed_size 512
		.amdhsa_private_segment_fixed_size 0
		.amdhsa_kernarg_size 20
		.amdhsa_user_sgpr_count 2
		.amdhsa_user_sgpr_dispatch_ptr 0
		.amdhsa_user_sgpr_queue_ptr 0
		.amdhsa_user_sgpr_kernarg_segment_ptr 1
		.amdhsa_user_sgpr_dispatch_id 0
		.amdhsa_user_sgpr_private_segment_size 0
		.amdhsa_wavefront_size32 1
		.amdhsa_uses_dynamic_stack 0
		.amdhsa_enable_private_segment 0
		.amdhsa_system_sgpr_workgroup_id_x 1
		.amdhsa_system_sgpr_workgroup_id_y 0
		.amdhsa_system_sgpr_workgroup_id_z 0
		.amdhsa_system_sgpr_workgroup_info 0
		.amdhsa_system_vgpr_workitem_id 0
		.amdhsa_next_free_vgpr 8
		.amdhsa_next_free_sgpr 8
		.amdhsa_reserve_vcc 1
		.amdhsa_float_round_mode_32 0
		.amdhsa_float_round_mode_16_64 0
		.amdhsa_float_denorm_mode_32 3
		.amdhsa_float_denorm_mode_16_64 3
		.amdhsa_fp16_overflow 0
		.amdhsa_workgroup_processor_mode 1
		.amdhsa_memory_ordered 1
		.amdhsa_forward_progress 1
		.amdhsa_inst_pref_size 4
		.amdhsa_round_robin_scheduling 0
		.amdhsa_exception_fp_ieee_invalid_op 0
		.amdhsa_exception_fp_denorm_src 0
		.amdhsa_exception_fp_ieee_div_zero 0
		.amdhsa_exception_fp_ieee_overflow 0
		.amdhsa_exception_fp_ieee_underflow 0
		.amdhsa_exception_fp_ieee_inexact 0
		.amdhsa_exception_int_div_zero 0
	.end_amdhsa_kernel
	.section	.text._Z6kernelI14subtract_rightLj256ELj3ELb0EJPaS1_jEEvDpT3_,"axG",@progbits,_Z6kernelI14subtract_rightLj256ELj3ELb0EJPaS1_jEEvDpT3_,comdat
.Lfunc_end73:
	.size	_Z6kernelI14subtract_rightLj256ELj3ELb0EJPaS1_jEEvDpT3_, .Lfunc_end73-_Z6kernelI14subtract_rightLj256ELj3ELb0EJPaS1_jEEvDpT3_
                                        ; -- End function
	.set _Z6kernelI14subtract_rightLj256ELj3ELb0EJPaS1_jEEvDpT3_.num_vgpr, 8
	.set _Z6kernelI14subtract_rightLj256ELj3ELb0EJPaS1_jEEvDpT3_.num_agpr, 0
	.set _Z6kernelI14subtract_rightLj256ELj3ELb0EJPaS1_jEEvDpT3_.numbered_sgpr, 8
	.set _Z6kernelI14subtract_rightLj256ELj3ELb0EJPaS1_jEEvDpT3_.num_named_barrier, 0
	.set _Z6kernelI14subtract_rightLj256ELj3ELb0EJPaS1_jEEvDpT3_.private_seg_size, 0
	.set _Z6kernelI14subtract_rightLj256ELj3ELb0EJPaS1_jEEvDpT3_.uses_vcc, 1
	.set _Z6kernelI14subtract_rightLj256ELj3ELb0EJPaS1_jEEvDpT3_.uses_flat_scratch, 0
	.set _Z6kernelI14subtract_rightLj256ELj3ELb0EJPaS1_jEEvDpT3_.has_dyn_sized_stack, 0
	.set _Z6kernelI14subtract_rightLj256ELj3ELb0EJPaS1_jEEvDpT3_.has_recursion, 0
	.set _Z6kernelI14subtract_rightLj256ELj3ELb0EJPaS1_jEEvDpT3_.has_indirect_call, 0
	.section	.AMDGPU.csdata,"",@progbits
; Kernel info:
; codeLenInByte = 440
; TotalNumSgprs: 10
; NumVgprs: 8
; ScratchSize: 0
; MemoryBound: 0
; FloatMode: 240
; IeeeMode: 1
; LDSByteSize: 512 bytes/workgroup (compile time only)
; SGPRBlocks: 0
; VGPRBlocks: 0
; NumSGPRsForWavesPerEU: 10
; NumVGPRsForWavesPerEU: 8
; Occupancy: 16
; WaveLimiterHint : 1
; COMPUTE_PGM_RSRC2:SCRATCH_EN: 0
; COMPUTE_PGM_RSRC2:USER_SGPR: 2
; COMPUTE_PGM_RSRC2:TRAP_HANDLER: 0
; COMPUTE_PGM_RSRC2:TGID_X_EN: 1
; COMPUTE_PGM_RSRC2:TGID_Y_EN: 0
; COMPUTE_PGM_RSRC2:TGID_Z_EN: 0
; COMPUTE_PGM_RSRC2:TIDIG_COMP_CNT: 0
	.section	.text._Z6kernelI14subtract_rightLj256ELj4ELb0EJPaS1_jEEvDpT3_,"axG",@progbits,_Z6kernelI14subtract_rightLj256ELj4ELb0EJPaS1_jEEvDpT3_,comdat
	.protected	_Z6kernelI14subtract_rightLj256ELj4ELb0EJPaS1_jEEvDpT3_ ; -- Begin function _Z6kernelI14subtract_rightLj256ELj4ELb0EJPaS1_jEEvDpT3_
	.globl	_Z6kernelI14subtract_rightLj256ELj4ELb0EJPaS1_jEEvDpT3_
	.p2align	8
	.type	_Z6kernelI14subtract_rightLj256ELj4ELb0EJPaS1_jEEvDpT3_,@function
_Z6kernelI14subtract_rightLj256ELj4ELb0EJPaS1_jEEvDpT3_: ; @_Z6kernelI14subtract_rightLj256ELj4ELb0EJPaS1_jEEvDpT3_
; %bb.0:
	s_load_b128 s[4:7], s[0:1], 0x0
	s_lshl_b32 s2, ttmp9, 10
	s_mov_b32 s3, 0
	s_load_b32 s0, s[0:1], 0x10
	s_wait_kmcnt 0x0
	s_add_nc_u64 s[4:5], s[4:5], s[2:3]
	s_clause 0x3
	global_load_u8 v1, v0, s[4:5] offset:256
	global_load_u8 v2, v0, s[4:5] offset:512
	global_load_u8 v3, v0, s[4:5]
	global_load_u8 v4, v0, s[4:5] offset:768
	s_cmp_eq_u32 s0, 0
	s_wait_loadcnt 0x1
	v_perm_b32 v1, v3, v1, 0xc0c0004
	s_wait_loadcnt 0x0
	v_perm_b32 v2, v2, v4, 0xc0c0004
	s_delay_alu instid0(VALU_DEP_1)
	v_lshl_or_b32 v1, v2, 16, v1
	s_cbranch_scc1 .LBB74_5
; %bb.1:
	v_cmp_ne_u32_e32 vcc_lo, 0xff, v0
	s_branch .LBB74_3
.LBB74_2:                               ;   in Loop: Header=BB74_3 Depth=1
	s_or_b32 exec_lo, exec_lo, s1
	v_lshrrev_b32_e32 v4, 16, v1
	v_lshrrev_b32_e32 v5, 8, v1
	v_lshrrev_b16 v9, 8, v1
	s_add_co_i32 s0, s0, -1
	s_wait_loadcnt 0x0
	v_sub_nc_u16 v6, v4, v2
	v_sub_nc_u16 v7, v5, v4
	;; [unrolled: 1-line block ×3, first 2 shown]
	v_add_nc_u16 v2, v3, v2
	s_cmp_lg_u32 s0, 0
	v_lshlrev_b16 v8, 8, v6
	v_and_b32_e32 v7, 0xff, v7
	v_and_b32_e32 v6, 0xff, v6
	v_add_nc_u16 v1, v5, v1
	v_lshlrev_b16 v2, 8, v2
	s_barrier_signal -1
	v_or_b32_e32 v7, v7, v8
	v_add_nc_u16 v3, v6, v4
	v_and_b32_e32 v1, 0xff, v1
	s_barrier_wait -1
	global_inv scope:SCOPE_SE
	v_add_nc_u16 v4, v7, v9
	v_and_b32_e32 v3, 0xff, v3
	s_delay_alu instid0(VALU_DEP_2) | instskip(NEXT) | instid1(VALU_DEP_2)
	v_lshlrev_b16 v4, 8, v4
	v_or_b32_e32 v2, v3, v2
	s_delay_alu instid0(VALU_DEP_2) | instskip(NEXT) | instid1(VALU_DEP_2)
	v_or_b32_e32 v1, v1, v4
	v_lshlrev_b32_e32 v2, 16, v2
	s_delay_alu instid0(VALU_DEP_2) | instskip(NEXT) | instid1(VALU_DEP_1)
	v_and_b32_e32 v1, 0xffff, v1
	v_or_b32_e32 v1, v1, v2
	s_cbranch_scc0 .LBB74_5
.LBB74_3:                               ; =>This Inner Loop Header: Depth=1
	s_delay_alu instid0(VALU_DEP_1)
	v_lshrrev_b32_e32 v2, 24, v1
	ds_store_b8 v0, v1 offset:256
	s_wait_dscnt 0x0
	s_barrier_signal -1
	s_barrier_wait -1
	v_mov_b32_e32 v3, v2
	global_inv scope:SCOPE_SE
	s_and_saveexec_b32 s1, vcc_lo
	s_cbranch_execz .LBB74_2
; %bb.4:                                ;   in Loop: Header=BB74_3 Depth=1
	ds_load_u8 v3, v0 offset:257
	s_wait_dscnt 0x0
	v_sub_nc_u16 v3, v2, v3
	s_branch .LBB74_2
.LBB74_5:
	s_add_nc_u64 s[0:1], s[6:7], s[2:3]
	s_delay_alu instid0(VALU_DEP_1)
	v_lshrrev_b32_e32 v4, 24, v1
	v_add_co_u32 v2, s0, s0, v0
	s_wait_alu 0xf1ff
	v_add_co_ci_u32_e64 v3, null, s1, 0, s0
	v_lshrrev_b32_e32 v0, 8, v1
	s_clause 0x3
	global_store_b8 v[2:3], v1, off
	global_store_b8 v[2:3], v0, off offset:256
	global_store_d16_hi_b8 v[2:3], v1, off offset:512
	global_store_b8 v[2:3], v4, off offset:768
	s_endpgm
	.section	.rodata,"a",@progbits
	.p2align	6, 0x0
	.amdhsa_kernel _Z6kernelI14subtract_rightLj256ELj4ELb0EJPaS1_jEEvDpT3_
		.amdhsa_group_segment_fixed_size 512
		.amdhsa_private_segment_fixed_size 0
		.amdhsa_kernarg_size 20
		.amdhsa_user_sgpr_count 2
		.amdhsa_user_sgpr_dispatch_ptr 0
		.amdhsa_user_sgpr_queue_ptr 0
		.amdhsa_user_sgpr_kernarg_segment_ptr 1
		.amdhsa_user_sgpr_dispatch_id 0
		.amdhsa_user_sgpr_private_segment_size 0
		.amdhsa_wavefront_size32 1
		.amdhsa_uses_dynamic_stack 0
		.amdhsa_enable_private_segment 0
		.amdhsa_system_sgpr_workgroup_id_x 1
		.amdhsa_system_sgpr_workgroup_id_y 0
		.amdhsa_system_sgpr_workgroup_id_z 0
		.amdhsa_system_sgpr_workgroup_info 0
		.amdhsa_system_vgpr_workitem_id 0
		.amdhsa_next_free_vgpr 10
		.amdhsa_next_free_sgpr 8
		.amdhsa_reserve_vcc 1
		.amdhsa_float_round_mode_32 0
		.amdhsa_float_round_mode_16_64 0
		.amdhsa_float_denorm_mode_32 3
		.amdhsa_float_denorm_mode_16_64 3
		.amdhsa_fp16_overflow 0
		.amdhsa_workgroup_processor_mode 1
		.amdhsa_memory_ordered 1
		.amdhsa_forward_progress 1
		.amdhsa_inst_pref_size 5
		.amdhsa_round_robin_scheduling 0
		.amdhsa_exception_fp_ieee_invalid_op 0
		.amdhsa_exception_fp_denorm_src 0
		.amdhsa_exception_fp_ieee_div_zero 0
		.amdhsa_exception_fp_ieee_overflow 0
		.amdhsa_exception_fp_ieee_underflow 0
		.amdhsa_exception_fp_ieee_inexact 0
		.amdhsa_exception_int_div_zero 0
	.end_amdhsa_kernel
	.section	.text._Z6kernelI14subtract_rightLj256ELj4ELb0EJPaS1_jEEvDpT3_,"axG",@progbits,_Z6kernelI14subtract_rightLj256ELj4ELb0EJPaS1_jEEvDpT3_,comdat
.Lfunc_end74:
	.size	_Z6kernelI14subtract_rightLj256ELj4ELb0EJPaS1_jEEvDpT3_, .Lfunc_end74-_Z6kernelI14subtract_rightLj256ELj4ELb0EJPaS1_jEEvDpT3_
                                        ; -- End function
	.set _Z6kernelI14subtract_rightLj256ELj4ELb0EJPaS1_jEEvDpT3_.num_vgpr, 10
	.set _Z6kernelI14subtract_rightLj256ELj4ELb0EJPaS1_jEEvDpT3_.num_agpr, 0
	.set _Z6kernelI14subtract_rightLj256ELj4ELb0EJPaS1_jEEvDpT3_.numbered_sgpr, 8
	.set _Z6kernelI14subtract_rightLj256ELj4ELb0EJPaS1_jEEvDpT3_.num_named_barrier, 0
	.set _Z6kernelI14subtract_rightLj256ELj4ELb0EJPaS1_jEEvDpT3_.private_seg_size, 0
	.set _Z6kernelI14subtract_rightLj256ELj4ELb0EJPaS1_jEEvDpT3_.uses_vcc, 1
	.set _Z6kernelI14subtract_rightLj256ELj4ELb0EJPaS1_jEEvDpT3_.uses_flat_scratch, 0
	.set _Z6kernelI14subtract_rightLj256ELj4ELb0EJPaS1_jEEvDpT3_.has_dyn_sized_stack, 0
	.set _Z6kernelI14subtract_rightLj256ELj4ELb0EJPaS1_jEEvDpT3_.has_recursion, 0
	.set _Z6kernelI14subtract_rightLj256ELj4ELb0EJPaS1_jEEvDpT3_.has_indirect_call, 0
	.section	.AMDGPU.csdata,"",@progbits
; Kernel info:
; codeLenInByte = 524
; TotalNumSgprs: 10
; NumVgprs: 10
; ScratchSize: 0
; MemoryBound: 0
; FloatMode: 240
; IeeeMode: 1
; LDSByteSize: 512 bytes/workgroup (compile time only)
; SGPRBlocks: 0
; VGPRBlocks: 1
; NumSGPRsForWavesPerEU: 10
; NumVGPRsForWavesPerEU: 10
; Occupancy: 16
; WaveLimiterHint : 1
; COMPUTE_PGM_RSRC2:SCRATCH_EN: 0
; COMPUTE_PGM_RSRC2:USER_SGPR: 2
; COMPUTE_PGM_RSRC2:TRAP_HANDLER: 0
; COMPUTE_PGM_RSRC2:TGID_X_EN: 1
; COMPUTE_PGM_RSRC2:TGID_Y_EN: 0
; COMPUTE_PGM_RSRC2:TGID_Z_EN: 0
; COMPUTE_PGM_RSRC2:TIDIG_COMP_CNT: 0
	.section	.text._Z6kernelI14subtract_rightLj256ELj8ELb0EJPaS1_jEEvDpT3_,"axG",@progbits,_Z6kernelI14subtract_rightLj256ELj8ELb0EJPaS1_jEEvDpT3_,comdat
	.protected	_Z6kernelI14subtract_rightLj256ELj8ELb0EJPaS1_jEEvDpT3_ ; -- Begin function _Z6kernelI14subtract_rightLj256ELj8ELb0EJPaS1_jEEvDpT3_
	.globl	_Z6kernelI14subtract_rightLj256ELj8ELb0EJPaS1_jEEvDpT3_
	.p2align	8
	.type	_Z6kernelI14subtract_rightLj256ELj8ELb0EJPaS1_jEEvDpT3_,@function
_Z6kernelI14subtract_rightLj256ELj8ELb0EJPaS1_jEEvDpT3_: ; @_Z6kernelI14subtract_rightLj256ELj8ELb0EJPaS1_jEEvDpT3_
; %bb.0:
	s_load_b128 s[4:7], s[0:1], 0x0
	s_lshl_b32 s2, ttmp9, 11
	s_mov_b32 s3, 0
	s_load_b32 s0, s[0:1], 0x10
	s_wait_kmcnt 0x0
	s_add_nc_u64 s[4:5], s[4:5], s[2:3]
	s_clause 0x7
	global_load_u8 v1, v0, s[4:5] offset:256
	global_load_u8 v2, v0, s[4:5] offset:1536
	;; [unrolled: 1-line block ×4, first 2 shown]
	global_load_u8 v5, v0, s[4:5]
	global_load_u8 v6, v0, s[4:5] offset:768
	global_load_u8 v7, v0, s[4:5] offset:1280
	;; [unrolled: 1-line block ×3, first 2 shown]
	s_cmp_eq_u32 s0, 0
	s_wait_loadcnt 0x3
	v_perm_b32 v1, v5, v1, 0xc0c0004
	s_wait_loadcnt 0x2
	v_perm_b32 v4, v4, v6, 0xc0c0004
	;; [unrolled: 2-line block ×4, first 2 shown]
	v_lshl_or_b32 v2, v4, 16, v1
	s_delay_alu instid0(VALU_DEP_2)
	v_lshl_or_b32 v1, v5, 16, v3
	s_cbranch_scc1 .LBB75_5
; %bb.1:
	v_cmp_ne_u32_e32 vcc_lo, 0xff, v0
	s_branch .LBB75_3
.LBB75_2:                               ;   in Loop: Header=BB75_3 Depth=1
	s_or_b32 exec_lo, exec_lo, s1
	s_delay_alu instid0(VALU_DEP_2)
	v_lshrrev_b16 v8, 8, v10
	v_lshrrev_b16 v9, 8, v1
	v_lshrrev_b32_e32 v13, 24, v11
	v_lshrrev_b16 v14, 8, v11
	v_lshrrev_b32_e32 v15, 16, v11
	v_add_nc_u16 v5, v8, v5
	v_lshrrev_b32_e32 v8, 24, v10
	v_add_nc_u16 v7, v13, v7
	v_add_nc_u16 v9, v14, v9
	;; [unrolled: 1-line block ×3, first 2 shown]
	v_lshlrev_b16 v5, 8, v5
	v_add_nc_u16 v2, v10, v2
	v_lshlrev_b16 v7, 8, v7
	v_lshlrev_b16 v9, 8, v9
	v_add_nc_u16 v6, v15, v6
	v_lshrrev_b32_e32 v5, 8, v5
	v_add_nc_u16 v4, v8, v4
	v_lshrrev_b32_e32 v7, 8, v7
	v_lshrrev_b32_e32 v8, 8, v9
	;; [unrolled: 1-line block ×3, first 2 shown]
	v_lshlrev_b16 v5, 8, v5
	v_and_b32_e32 v2, 0xff, v2
	v_and_b32_e32 v6, 0xff, v6
	v_lshlrev_b16 v7, 8, v7
	v_lshlrev_b16 v8, 8, v8
	v_and_b32_e32 v1, 0xff, v1
	v_lshlrev_b16 v4, 8, v4
	v_add_nc_u16 v3, v12, v3
	v_or_b32_e32 v2, v2, v5
	v_or_b32_e32 v5, v6, v7
	;; [unrolled: 1-line block ×3, first 2 shown]
	s_add_co_i32 s0, s0, -1
	v_perm_b32 v3, v3, v4, 0xc0c0104
	v_and_b32_e32 v2, 0xffff, v2
	v_lshlrev_b32_e32 v4, 16, v5
	v_and_b32_e32 v1, 0xffff, v1
	s_cmp_lg_u32 s0, 0
	s_wait_loadcnt 0x0
	v_lshl_or_b32 v2, v3, 16, v2
	s_barrier_signal -1
	v_or_b32_e32 v1, v1, v4
	s_barrier_wait -1
	global_inv scope:SCOPE_SE
	s_cbranch_scc0 .LBB75_5
.LBB75_3:                               ; =>This Inner Loop Header: Depth=1
	v_lshrrev_b16 v5, 8, v2
	v_lshrrev_b32_e32 v3, 16, v2
	v_lshrrev_b32_e32 v4, 8, v2
	;; [unrolled: 1-line block ×3, first 2 shown]
	ds_store_b8 v0, v2 offset:256
	s_wait_dscnt 0x0
	v_sub_nc_u16 v6, v5, v3
	v_sub_nc_u16 v7, v2, v4
	v_lshrrev_b32_e32 v4, 24, v2
	s_barrier_signal -1
	s_barrier_wait -1
	v_lshlrev_b16 v6, 8, v6
	v_and_b32_e32 v7, 0xff, v7
	v_sub_nc_u16 v8, v3, v4
	v_sub_nc_u16 v9, v4, v1
	global_inv scope:SCOPE_SE
	v_or_b32_e32 v10, v7, v6
	v_and_b32_e32 v11, 0xff, v8
	v_lshlrev_b16 v12, 8, v9
	v_lshrrev_b32_e32 v6, 16, v1
	v_lshrrev_b32_e32 v7, 24, v1
	v_and_b32_e32 v8, 0xffff, v10
	v_and_b32_e32 v10, 0xff, v10
	v_or_b32_e32 v9, v11, v12
	v_lshrrev_b32_e32 v11, 8, v12
	v_sub_nc_u16 v14, v13, v6
	v_lshrrev_b32_e32 v12, 8, v8
	v_sub_nc_u16 v13, v1, v13
	v_and_b32_e32 v15, 0xff, v9
	v_lshlrev_b16 v11, 8, v11
	v_sub_nc_u16 v16, v6, v7
	v_lshlrev_b16 v12, 8, v12
	v_lshlrev_b16 v14, 8, v14
	v_and_b32_e32 v13, 0xff, v13
	v_or_b32_e32 v11, v15, v11
	s_delay_alu instid0(VALU_DEP_4) | instskip(SKIP_1) | instid1(VALU_DEP_4)
	v_or_b32_e32 v10, v10, v12
	v_perm_b32 v12, v16, v1, 0xc0c0304
	v_or_b32_e32 v13, v13, v14
	s_delay_alu instid0(VALU_DEP_4) | instskip(NEXT) | instid1(VALU_DEP_4)
	v_lshlrev_b32_e32 v11, 16, v11
	v_and_b32_e32 v10, 0xffff, v10
	s_delay_alu instid0(VALU_DEP_1) | instskip(NEXT) | instid1(VALU_DEP_4)
	v_or_b32_e32 v10, v10, v11
	v_perm_b32 v11, v13, v12, 0x1000504
	s_and_saveexec_b32 s1, vcc_lo
	s_cbranch_execz .LBB75_2
; %bb.4:                                ;   in Loop: Header=BB75_3 Depth=1
	ds_load_u8 v10, v0 offset:257
	v_and_b32_e32 v11, 0xffff, v13
	v_lshlrev_b32_e32 v9, 16, v9
	s_delay_alu instid0(VALU_DEP_2) | instskip(NEXT) | instid1(VALU_DEP_2)
	v_lshl_or_b32 v11, v12, 16, v11
	v_or_b32_e32 v8, v8, v9
	s_delay_alu instid0(VALU_DEP_2) | instskip(SKIP_2) | instid1(VALU_DEP_3)
	v_lshrrev_b32_e32 v12, 8, v11
	v_lshrrev_b32_e32 v13, 16, v11
	v_and_b32_e32 v11, 0xff, v11
	v_lshlrev_b16 v12, 8, v12
	s_delay_alu instid0(VALU_DEP_3) | instskip(SKIP_2) | instid1(VALU_DEP_3)
	v_and_b32_e32 v13, 0xff, v13
	s_wait_dscnt 0x0
	v_sub_nc_u16 v10, v7, v10
	v_or_b32_e32 v11, v11, v12
	s_delay_alu instid0(VALU_DEP_2) | instskip(NEXT) | instid1(VALU_DEP_2)
	v_lshlrev_b16 v10, 8, v10
	v_and_b32_e32 v9, 0xffff, v11
	s_delay_alu instid0(VALU_DEP_2) | instskip(NEXT) | instid1(VALU_DEP_1)
	v_or_b32_e32 v10, v13, v10
	v_lshlrev_b32_e32 v11, 16, v10
	v_perm_b32 v10, v8, v8, 0x3020104
	s_delay_alu instid0(VALU_DEP_2)
	v_or_b32_e32 v11, v9, v11
	s_branch .LBB75_2
.LBB75_5:
	s_add_nc_u64 s[0:1], s[6:7], s[2:3]
	s_delay_alu instid0(VALU_DEP_2)
	v_lshrrev_b32_e32 v5, 24, v2
	v_add_co_u32 v3, s0, s0, v0
	s_wait_alu 0xf1ff
	v_add_co_ci_u32_e64 v4, null, s1, 0, s0
	v_lshrrev_b32_e32 v0, 8, v2
	v_lshrrev_b32_e32 v6, 8, v1
	;; [unrolled: 1-line block ×3, first 2 shown]
	s_clause 0x7
	global_store_b8 v[3:4], v2, off
	global_store_b8 v[3:4], v0, off offset:256
	global_store_d16_hi_b8 v[3:4], v2, off offset:512
	global_store_b8 v[3:4], v5, off offset:768
	global_store_b8 v[3:4], v1, off offset:1024
	;; [unrolled: 1-line block ×3, first 2 shown]
	global_store_d16_hi_b8 v[3:4], v1, off offset:1536
	global_store_b8 v[3:4], v7, off offset:1792
	s_endpgm
	.section	.rodata,"a",@progbits
	.p2align	6, 0x0
	.amdhsa_kernel _Z6kernelI14subtract_rightLj256ELj8ELb0EJPaS1_jEEvDpT3_
		.amdhsa_group_segment_fixed_size 512
		.amdhsa_private_segment_fixed_size 0
		.amdhsa_kernarg_size 20
		.amdhsa_user_sgpr_count 2
		.amdhsa_user_sgpr_dispatch_ptr 0
		.amdhsa_user_sgpr_queue_ptr 0
		.amdhsa_user_sgpr_kernarg_segment_ptr 1
		.amdhsa_user_sgpr_dispatch_id 0
		.amdhsa_user_sgpr_private_segment_size 0
		.amdhsa_wavefront_size32 1
		.amdhsa_uses_dynamic_stack 0
		.amdhsa_enable_private_segment 0
		.amdhsa_system_sgpr_workgroup_id_x 1
		.amdhsa_system_sgpr_workgroup_id_y 0
		.amdhsa_system_sgpr_workgroup_id_z 0
		.amdhsa_system_sgpr_workgroup_info 0
		.amdhsa_system_vgpr_workitem_id 0
		.amdhsa_next_free_vgpr 17
		.amdhsa_next_free_sgpr 8
		.amdhsa_reserve_vcc 1
		.amdhsa_float_round_mode_32 0
		.amdhsa_float_round_mode_16_64 0
		.amdhsa_float_denorm_mode_32 3
		.amdhsa_float_denorm_mode_16_64 3
		.amdhsa_fp16_overflow 0
		.amdhsa_workgroup_processor_mode 1
		.amdhsa_memory_ordered 1
		.amdhsa_forward_progress 1
		.amdhsa_inst_pref_size 9
		.amdhsa_round_robin_scheduling 0
		.amdhsa_exception_fp_ieee_invalid_op 0
		.amdhsa_exception_fp_denorm_src 0
		.amdhsa_exception_fp_ieee_div_zero 0
		.amdhsa_exception_fp_ieee_overflow 0
		.amdhsa_exception_fp_ieee_underflow 0
		.amdhsa_exception_fp_ieee_inexact 0
		.amdhsa_exception_int_div_zero 0
	.end_amdhsa_kernel
	.section	.text._Z6kernelI14subtract_rightLj256ELj8ELb0EJPaS1_jEEvDpT3_,"axG",@progbits,_Z6kernelI14subtract_rightLj256ELj8ELb0EJPaS1_jEEvDpT3_,comdat
.Lfunc_end75:
	.size	_Z6kernelI14subtract_rightLj256ELj8ELb0EJPaS1_jEEvDpT3_, .Lfunc_end75-_Z6kernelI14subtract_rightLj256ELj8ELb0EJPaS1_jEEvDpT3_
                                        ; -- End function
	.set _Z6kernelI14subtract_rightLj256ELj8ELb0EJPaS1_jEEvDpT3_.num_vgpr, 17
	.set _Z6kernelI14subtract_rightLj256ELj8ELb0EJPaS1_jEEvDpT3_.num_agpr, 0
	.set _Z6kernelI14subtract_rightLj256ELj8ELb0EJPaS1_jEEvDpT3_.numbered_sgpr, 8
	.set _Z6kernelI14subtract_rightLj256ELj8ELb0EJPaS1_jEEvDpT3_.num_named_barrier, 0
	.set _Z6kernelI14subtract_rightLj256ELj8ELb0EJPaS1_jEEvDpT3_.private_seg_size, 0
	.set _Z6kernelI14subtract_rightLj256ELj8ELb0EJPaS1_jEEvDpT3_.uses_vcc, 1
	.set _Z6kernelI14subtract_rightLj256ELj8ELb0EJPaS1_jEEvDpT3_.uses_flat_scratch, 0
	.set _Z6kernelI14subtract_rightLj256ELj8ELb0EJPaS1_jEEvDpT3_.has_dyn_sized_stack, 0
	.set _Z6kernelI14subtract_rightLj256ELj8ELb0EJPaS1_jEEvDpT3_.has_recursion, 0
	.set _Z6kernelI14subtract_rightLj256ELj8ELb0EJPaS1_jEEvDpT3_.has_indirect_call, 0
	.section	.AMDGPU.csdata,"",@progbits
; Kernel info:
; codeLenInByte = 1124
; TotalNumSgprs: 10
; NumVgprs: 17
; ScratchSize: 0
; MemoryBound: 0
; FloatMode: 240
; IeeeMode: 1
; LDSByteSize: 512 bytes/workgroup (compile time only)
; SGPRBlocks: 0
; VGPRBlocks: 2
; NumSGPRsForWavesPerEU: 10
; NumVGPRsForWavesPerEU: 17
; Occupancy: 16
; WaveLimiterHint : 1
; COMPUTE_PGM_RSRC2:SCRATCH_EN: 0
; COMPUTE_PGM_RSRC2:USER_SGPR: 2
; COMPUTE_PGM_RSRC2:TRAP_HANDLER: 0
; COMPUTE_PGM_RSRC2:TGID_X_EN: 1
; COMPUTE_PGM_RSRC2:TGID_Y_EN: 0
; COMPUTE_PGM_RSRC2:TGID_Z_EN: 0
; COMPUTE_PGM_RSRC2:TIDIG_COMP_CNT: 0
	.section	.text._Z6kernelI14subtract_rightLj256ELj16ELb0EJPaS1_jEEvDpT3_,"axG",@progbits,_Z6kernelI14subtract_rightLj256ELj16ELb0EJPaS1_jEEvDpT3_,comdat
	.protected	_Z6kernelI14subtract_rightLj256ELj16ELb0EJPaS1_jEEvDpT3_ ; -- Begin function _Z6kernelI14subtract_rightLj256ELj16ELb0EJPaS1_jEEvDpT3_
	.globl	_Z6kernelI14subtract_rightLj256ELj16ELb0EJPaS1_jEEvDpT3_
	.p2align	8
	.type	_Z6kernelI14subtract_rightLj256ELj16ELb0EJPaS1_jEEvDpT3_,@function
_Z6kernelI14subtract_rightLj256ELj16ELb0EJPaS1_jEEvDpT3_: ; @_Z6kernelI14subtract_rightLj256ELj16ELb0EJPaS1_jEEvDpT3_
; %bb.0:
	s_load_b128 s[4:7], s[0:1], 0x0
	s_lshl_b32 s2, ttmp9, 12
	s_mov_b32 s3, 0
	s_load_b32 s0, s[0:1], 0x10
	s_wait_kmcnt 0x0
	s_add_nc_u64 s[4:5], s[4:5], s[2:3]
	s_clause 0xf
	global_load_u8 v1, v0, s[4:5] offset:256
	global_load_u8 v2, v0, s[4:5] offset:768
	;; [unrolled: 1-line block ×7, first 2 shown]
	global_load_u8 v8, v0, s[4:5]
	global_load_u8 v9, v0, s[4:5] offset:2304
	global_load_u8 v10, v0, s[4:5] offset:3584
	;; [unrolled: 1-line block ×8, first 2 shown]
	s_cmp_eq_u32 s0, 0
	s_wait_loadcnt 0xb
	v_perm_b32 v5, v5, v4, 0xc0c0004
	s_wait_loadcnt 0xa
	v_perm_b32 v3, v6, v3, 0xc0c0004
	;; [unrolled: 2-line block ×4, first 2 shown]
	v_lshl_or_b32 v3, v5, 16, v3
	s_wait_loadcnt 0x3
	v_perm_b32 v6, v13, v9, 0xc0c0004
	s_wait_loadcnt 0x2
	v_perm_b32 v7, v12, v14, 0xc0c0004
	;; [unrolled: 2-line block ×4, first 2 shown]
	v_lshl_or_b32 v4, v2, 16, v1
	v_lshl_or_b32 v1, v7, 16, v6
	s_delay_alu instid0(VALU_DEP_3)
	v_lshl_or_b32 v2, v9, 16, v8
	s_cbranch_scc1 .LBB76_5
; %bb.1:
	v_cmp_ne_u32_e32 vcc_lo, 0xff, v0
	s_branch .LBB76_3
.LBB76_2:                               ;   in Loop: Header=BB76_3 Depth=1
	s_or_b32 exec_lo, exec_lo, s1
	v_lshrrev_b16 v15, 8, v2
	s_delay_alu instid0(VALU_DEP_2)
	v_lshrrev_b16 v18, 8, v25
	v_lshrrev_b32_e32 v19, 24, v25
	v_lshrrev_b32_e32 v20, 24, v21
	;; [unrolled: 1-line block ×4, first 2 shown]
	v_add_nc_u16 v15, v18, v15
	v_lshrrev_b32_e32 v18, 24, v22
	v_add_nc_u16 v17, v19, v17
	v_lshrrev_b16 v19, 8, v22
	v_lshrrev_b16 v24, 8, v21
	v_lshlrev_b16 v15, 8, v15
	v_add_nc_u16 v11, v18, v11
	v_lshlrev_b16 v17, 8, v17
	v_add_nc_u16 v9, v19, v9
	v_lshrrev_b32_e32 v30, 16, v25
	v_add_nc_u16 v8, v20, v8
	v_lshlrev_b16 v11, 8, v11
	v_add_nc_u16 v7, v26, v7
	v_lshlrev_b16 v9, 8, v9
	v_lshrrev_b16 v28, 8, v23
	v_lshrrev_b32_e32 v29, 24, v23
	v_lshrrev_b32_e32 v11, 8, v11
	;; [unrolled: 1-line block ×4, first 2 shown]
	v_add_nc_u16 v12, v30, v12
	v_add_nc_u16 v6, v24, v6
	v_lshrrev_b32_e32 v9, 8, v9
	v_lshlrev_b16 v8, 8, v8
	v_add_nc_u16 v5, v16, v5
	v_add_nc_u16 v2, v25, v2
	v_and_b32_e32 v7, 0xff, v7
	v_lshlrev_b16 v11, 8, v11
	v_add_nc_u16 v3, v22, v3
	v_lshrrev_b32_e32 v27, 16, v23
	v_add_nc_u16 v13, v28, v13
	v_add_nc_u16 v14, v29, v14
	v_lshlrev_b16 v6, 8, v6
	v_add_nc_u16 v4, v21, v4
	v_perm_b32 v5, v5, v8, 0xc0c0104
	v_or_b32_e32 v7, v7, v11
	v_lshlrev_b16 v8, 8, v9
	v_and_b32_e32 v3, 0xff, v3
	v_and_b32_e32 v9, 0xff, v12
	v_lshlrev_b16 v11, 8, v17
	v_lshlrev_b16 v12, 8, v15
	v_and_b32_e32 v2, 0xff, v2
	v_lshlrev_b16 v13, 8, v13
	v_lshlrev_b16 v14, 8, v14
	v_add_nc_u16 v10, v27, v10
	v_add_nc_u16 v1, v23, v1
	v_or_b32_e32 v3, v3, v8
	v_perm_b32 v4, v4, v6, 0xc0c0104
	v_lshlrev_b32_e32 v6, 16, v7
	v_or_b32_e32 v7, v9, v11
	v_or_b32_e32 v2, v2, v12
	v_and_b32_e32 v3, 0xffff, v3
	v_perm_b32 v8, v10, v14, 0xc0c0104
	v_perm_b32 v1, v1, v13, 0xc0c0104
	v_lshlrev_b32_e32 v7, 16, v7
	v_and_b32_e32 v2, 0xffff, v2
	v_lshl_or_b32 v4, v5, 16, v4
	v_or_b32_e32 v3, v3, v6
	v_lshl_or_b32 v1, v8, 16, v1
	s_add_co_i32 s0, s0, -1
	v_or_b32_e32 v2, v2, v7
	s_cmp_lg_u32 s0, 0
	s_wait_loadcnt 0x0
	s_barrier_signal -1
	s_barrier_wait -1
	global_inv scope:SCOPE_SE
	s_cbranch_scc0 .LBB76_5
.LBB76_3:                               ; =>This Inner Loop Header: Depth=1
	v_lshrrev_b16 v6, 8, v4
	v_lshrrev_b32_e32 v5, 16, v4
	v_lshrrev_b32_e32 v7, 8, v4
	v_lshrrev_b16 v9, 8, v3
	v_lshrrev_b32_e32 v14, 8, v3
	v_lshrrev_b16 v13, 8, v1
	v_sub_nc_u16 v8, v6, v5
	v_sub_nc_u16 v10, v4, v7
	v_lshrrev_b32_e32 v7, 16, v3
	v_sub_nc_u16 v14, v3, v14
	v_lshrrev_b32_e32 v11, 24, v3
	v_lshlrev_b16 v12, 8, v8
	v_lshrrev_b32_e32 v8, 24, v4
	v_sub_nc_u16 v18, v9, v7
	v_and_b32_e32 v15, 0xff, v10
	v_lshrrev_b32_e32 v10, 16, v1
	v_and_b32_e32 v14, 0xff, v14
	v_sub_nc_u16 v16, v5, v8
	v_sub_nc_u16 v19, v8, v3
	v_or_b32_e32 v21, v15, v12
	v_sub_nc_u16 v23, v13, v10
	v_lshrrev_b32_e32 v17, 8, v2
	v_and_b32_e32 v20, 0xff, v16
	v_lshlrev_b16 v16, 8, v18
	v_lshrrev_b32_e32 v18, 8, v1
	v_lshlrev_b16 v22, 8, v19
	v_sub_nc_u16 v19, v7, v11
	v_lshlrev_b16 v23, 8, v23
	v_or_b32_e32 v25, v14, v16
	v_sub_nc_u16 v18, v1, v18
	v_sub_nc_u16 v16, v11, v1
	v_lshrrev_b32_e32 v14, 24, v1
	v_lshrrev_b32_e32 v12, 16, v2
	v_and_b32_e32 v15, 0xffff, v21
	v_and_b32_e32 v24, 0xff, v18
	;; [unrolled: 1-line block ×3, first 2 shown]
	v_lshlrev_b16 v26, 8, v16
	v_sub_nc_u16 v29, v14, v2
	v_and_b32_e32 v16, 0xffff, v25
	v_or_b32_e32 v23, v24, v23
	v_sub_nc_u16 v24, v10, v14
	v_or_b32_e32 v18, v20, v22
	v_or_b32_e32 v20, v19, v26
	v_lshrrev_b32_e32 v28, 8, v26
	v_and_b32_e32 v19, 0xffff, v23
	v_and_b32_e32 v24, 0xff, v24
	v_lshrrev_b32_e32 v26, 8, v15
	v_sub_nc_u16 v30, v17, v12
	v_sub_nc_u16 v17, v2, v17
	v_lshlrev_b16 v29, 8, v29
	v_lshrrev_b32_e32 v27, 8, v16
	v_and_b32_e32 v21, 0xff, v21
	v_lshlrev_b16 v26, 8, v26
	v_lshlrev_b16 v30, 8, v30
	v_and_b32_e32 v31, 0xff, v17
	v_or_b32_e32 v24, v24, v29
	v_lshrrev_b32_e32 v22, 8, v22
	v_lshrrev_b32_e32 v32, 8, v19
	v_lshrrev_b32_e32 v29, 8, v29
	v_lshrrev_b32_e32 v17, 24, v2
	v_or_b32_e32 v21, v21, v26
	v_or_b32_e32 v26, v31, v30
	v_and_b32_e32 v31, 0xff, v18
	v_lshlrev_b16 v22, 8, v22
	v_and_b32_e32 v25, 0xff, v25
	v_lshlrev_b16 v27, 8, v27
	;; [unrolled: 2-line block ×5, first 2 shown]
	v_sub_nc_u16 v30, v12, v17
	v_or_b32_e32 v22, v31, v22
	v_or_b32_e32 v25, v25, v27
	;; [unrolled: 1-line block ×5, first 2 shown]
	v_and_b32_e32 v21, 0xffff, v21
	v_lshlrev_b32_e32 v22, 16, v22
	v_and_b32_e32 v25, 0xffff, v25
	v_lshlrev_b32_e32 v29, 16, v27
	;; [unrolled: 2-line block ×3, first 2 shown]
	v_perm_b32 v27, v30, v2, 0xc0c0304
	v_or_b32_e32 v21, v21, v22
	v_or_b32_e32 v22, v25, v29
	ds_store_b8 v0, v4 offset:256
	v_or_b32_e32 v23, v23, v28
	v_perm_b32 v25, v26, v27, 0x1000504
	s_wait_dscnt 0x0
	s_barrier_signal -1
	s_barrier_wait -1
	global_inv scope:SCOPE_SE
	s_and_saveexec_b32 s1, vcc_lo
	s_cbranch_execz .LBB76_2
; %bb.4:                                ;   in Loop: Header=BB76_3 Depth=1
	ds_load_u8 v21, v0 offset:257
	v_and_b32_e32 v22, 0xffff, v26
	v_lshlrev_b32_e32 v18, 16, v18
	v_lshlrev_b32_e32 v20, 16, v20
	s_delay_alu instid0(VALU_DEP_3) | instskip(NEXT) | instid1(VALU_DEP_1)
	v_lshl_or_b32 v22, v27, 16, v22
	v_lshrrev_b32_e32 v23, 8, v22
	v_lshrrev_b32_e32 v25, 16, v22
	v_and_b32_e32 v22, 0xff, v22
	s_delay_alu instid0(VALU_DEP_3) | instskip(NEXT) | instid1(VALU_DEP_3)
	v_lshlrev_b16 v23, 8, v23
	v_and_b32_e32 v25, 0xff, v25
	s_wait_dscnt 0x0
	v_sub_nc_u16 v21, v17, v21
	s_delay_alu instid0(VALU_DEP_3) | instskip(SKIP_1) | instid1(VALU_DEP_3)
	v_or_b32_e32 v22, v22, v23
	v_lshlrev_b32_e32 v23, 16, v24
	v_lshlrev_b16 v21, 8, v21
	s_delay_alu instid0(VALU_DEP_3) | instskip(SKIP_1) | instid1(VALU_DEP_4)
	v_and_b32_e32 v24, 0xffff, v22
	v_or_b32_e32 v22, v16, v20
	v_or_b32_e32 v23, v19, v23
	s_delay_alu instid0(VALU_DEP_4) | instskip(NEXT) | instid1(VALU_DEP_1)
	v_or_b32_e32 v21, v25, v21
	v_lshlrev_b32_e32 v25, 16, v21
	v_or_b32_e32 v21, v15, v18
	s_delay_alu instid0(VALU_DEP_2)
	v_or_b32_e32 v25, v24, v25
	s_branch .LBB76_2
.LBB76_5:
	s_add_nc_u64 s[0:1], s[6:7], s[2:3]
	v_lshrrev_b32_e32 v7, 24, v4
	v_add_co_u32 v5, s0, s0, v0
	s_wait_alu 0xf1ff
	v_add_co_ci_u32_e64 v6, null, s1, 0, s0
	v_lshrrev_b32_e32 v0, 8, v4
	v_lshrrev_b32_e32 v8, 8, v3
	;; [unrolled: 1-line block ×3, first 2 shown]
	s_clause 0x7
	global_store_b8 v[5:6], v4, off
	global_store_b8 v[5:6], v0, off offset:256
	global_store_d16_hi_b8 v[5:6], v4, off offset:512
	global_store_b8 v[5:6], v7, off offset:768
	global_store_b8 v[5:6], v3, off offset:1024
	;; [unrolled: 1-line block ×3, first 2 shown]
	global_store_d16_hi_b8 v[5:6], v3, off offset:1536
	global_store_b8 v[5:6], v9, off offset:1792
	v_lshrrev_b32_e32 v0, 8, v1
	v_lshrrev_b32_e32 v3, 24, v1
	v_lshrrev_b32_e32 v4, 8, v2
	v_lshrrev_b32_e32 v7, 24, v2
	s_clause 0x7
	global_store_b8 v[5:6], v1, off offset:2048
	global_store_b8 v[5:6], v0, off offset:2304
	global_store_d16_hi_b8 v[5:6], v1, off offset:2560
	global_store_b8 v[5:6], v3, off offset:2816
	global_store_b8 v[5:6], v2, off offset:3072
	;; [unrolled: 1-line block ×3, first 2 shown]
	global_store_d16_hi_b8 v[5:6], v2, off offset:3584
	global_store_b8 v[5:6], v7, off offset:3840
	s_endpgm
	.section	.rodata,"a",@progbits
	.p2align	6, 0x0
	.amdhsa_kernel _Z6kernelI14subtract_rightLj256ELj16ELb0EJPaS1_jEEvDpT3_
		.amdhsa_group_segment_fixed_size 512
		.amdhsa_private_segment_fixed_size 0
		.amdhsa_kernarg_size 20
		.amdhsa_user_sgpr_count 2
		.amdhsa_user_sgpr_dispatch_ptr 0
		.amdhsa_user_sgpr_queue_ptr 0
		.amdhsa_user_sgpr_kernarg_segment_ptr 1
		.amdhsa_user_sgpr_dispatch_id 0
		.amdhsa_user_sgpr_private_segment_size 0
		.amdhsa_wavefront_size32 1
		.amdhsa_uses_dynamic_stack 0
		.amdhsa_enable_private_segment 0
		.amdhsa_system_sgpr_workgroup_id_x 1
		.amdhsa_system_sgpr_workgroup_id_y 0
		.amdhsa_system_sgpr_workgroup_id_z 0
		.amdhsa_system_sgpr_workgroup_info 0
		.amdhsa_system_vgpr_workitem_id 0
		.amdhsa_next_free_vgpr 35
		.amdhsa_next_free_sgpr 8
		.amdhsa_reserve_vcc 1
		.amdhsa_float_round_mode_32 0
		.amdhsa_float_round_mode_16_64 0
		.amdhsa_float_denorm_mode_32 3
		.amdhsa_float_denorm_mode_16_64 3
		.amdhsa_fp16_overflow 0
		.amdhsa_workgroup_processor_mode 1
		.amdhsa_memory_ordered 1
		.amdhsa_forward_progress 1
		.amdhsa_inst_pref_size 16
		.amdhsa_round_robin_scheduling 0
		.amdhsa_exception_fp_ieee_invalid_op 0
		.amdhsa_exception_fp_denorm_src 0
		.amdhsa_exception_fp_ieee_div_zero 0
		.amdhsa_exception_fp_ieee_overflow 0
		.amdhsa_exception_fp_ieee_underflow 0
		.amdhsa_exception_fp_ieee_inexact 0
		.amdhsa_exception_int_div_zero 0
	.end_amdhsa_kernel
	.section	.text._Z6kernelI14subtract_rightLj256ELj16ELb0EJPaS1_jEEvDpT3_,"axG",@progbits,_Z6kernelI14subtract_rightLj256ELj16ELb0EJPaS1_jEEvDpT3_,comdat
.Lfunc_end76:
	.size	_Z6kernelI14subtract_rightLj256ELj16ELb0EJPaS1_jEEvDpT3_, .Lfunc_end76-_Z6kernelI14subtract_rightLj256ELj16ELb0EJPaS1_jEEvDpT3_
                                        ; -- End function
	.set _Z6kernelI14subtract_rightLj256ELj16ELb0EJPaS1_jEEvDpT3_.num_vgpr, 35
	.set _Z6kernelI14subtract_rightLj256ELj16ELb0EJPaS1_jEEvDpT3_.num_agpr, 0
	.set _Z6kernelI14subtract_rightLj256ELj16ELb0EJPaS1_jEEvDpT3_.numbered_sgpr, 8
	.set _Z6kernelI14subtract_rightLj256ELj16ELb0EJPaS1_jEEvDpT3_.num_named_barrier, 0
	.set _Z6kernelI14subtract_rightLj256ELj16ELb0EJPaS1_jEEvDpT3_.private_seg_size, 0
	.set _Z6kernelI14subtract_rightLj256ELj16ELb0EJPaS1_jEEvDpT3_.uses_vcc, 1
	.set _Z6kernelI14subtract_rightLj256ELj16ELb0EJPaS1_jEEvDpT3_.uses_flat_scratch, 0
	.set _Z6kernelI14subtract_rightLj256ELj16ELb0EJPaS1_jEEvDpT3_.has_dyn_sized_stack, 0
	.set _Z6kernelI14subtract_rightLj256ELj16ELb0EJPaS1_jEEvDpT3_.has_recursion, 0
	.set _Z6kernelI14subtract_rightLj256ELj16ELb0EJPaS1_jEEvDpT3_.has_indirect_call, 0
	.section	.AMDGPU.csdata,"",@progbits
; Kernel info:
; codeLenInByte = 1936
; TotalNumSgprs: 10
; NumVgprs: 35
; ScratchSize: 0
; MemoryBound: 0
; FloatMode: 240
; IeeeMode: 1
; LDSByteSize: 512 bytes/workgroup (compile time only)
; SGPRBlocks: 0
; VGPRBlocks: 4
; NumSGPRsForWavesPerEU: 10
; NumVGPRsForWavesPerEU: 35
; Occupancy: 16
; WaveLimiterHint : 1
; COMPUTE_PGM_RSRC2:SCRATCH_EN: 0
; COMPUTE_PGM_RSRC2:USER_SGPR: 2
; COMPUTE_PGM_RSRC2:TRAP_HANDLER: 0
; COMPUTE_PGM_RSRC2:TGID_X_EN: 1
; COMPUTE_PGM_RSRC2:TGID_Y_EN: 0
; COMPUTE_PGM_RSRC2:TGID_Z_EN: 0
; COMPUTE_PGM_RSRC2:TIDIG_COMP_CNT: 0
	.section	.text._Z6kernelI14subtract_rightLj256ELj32ELb0EJPaS1_jEEvDpT3_,"axG",@progbits,_Z6kernelI14subtract_rightLj256ELj32ELb0EJPaS1_jEEvDpT3_,comdat
	.protected	_Z6kernelI14subtract_rightLj256ELj32ELb0EJPaS1_jEEvDpT3_ ; -- Begin function _Z6kernelI14subtract_rightLj256ELj32ELb0EJPaS1_jEEvDpT3_
	.globl	_Z6kernelI14subtract_rightLj256ELj32ELb0EJPaS1_jEEvDpT3_
	.p2align	8
	.type	_Z6kernelI14subtract_rightLj256ELj32ELb0EJPaS1_jEEvDpT3_,@function
_Z6kernelI14subtract_rightLj256ELj32ELb0EJPaS1_jEEvDpT3_: ; @_Z6kernelI14subtract_rightLj256ELj32ELb0EJPaS1_jEEvDpT3_
; %bb.0:
	s_load_b128 s[4:7], s[0:1], 0x0
	s_lshl_b32 s2, ttmp9, 13
	s_mov_b32 s3, 0
	s_load_b32 s0, s[0:1], 0x10
	s_wait_kmcnt 0x0
	s_add_nc_u64 s[4:5], s[4:5], s[2:3]
	s_clause 0x1f
	global_load_u8 v1, v0, s[4:5] offset:256
	global_load_u8 v2, v0, s[4:5] offset:768
	;; [unrolled: 1-line block ×7, first 2 shown]
	global_load_u8 v8, v0, s[4:5]
	global_load_u8 v9, v0, s[4:5] offset:2304
	global_load_u8 v10, v0, s[4:5] offset:2816
	;; [unrolled: 1-line block ×24, first 2 shown]
	s_cmp_eq_u32 s0, 0
	s_wait_loadcnt 0x1b
	v_perm_b32 v4, v5, v4, 0xc0c0004
	s_wait_loadcnt 0x1a
	v_perm_b32 v3, v6, v3, 0xc0c0004
	;; [unrolled: 2-line block ×4, first 2 shown]
	v_lshl_or_b32 v8, v4, 16, v3
	s_delay_alu instid0(VALU_DEP_2)
	v_lshl_or_b32 v7, v2, 16, v1
	s_wait_loadcnt 0x11
	v_perm_b32 v6, v15, v10, 0xc0c0004
	s_wait_loadcnt 0x10
	v_perm_b32 v5, v16, v9, 0xc0c0004
	v_perm_b32 v9, v14, v11, 0xc0c0004
	;; [unrolled: 1-line block ×3, first 2 shown]
	s_wait_loadcnt 0xb
	v_perm_b32 v14, v21, v20, 0xc0c0004
	s_wait_loadcnt 0xa
	v_perm_b32 v13, v22, v19, 0xc0c0004
	;; [unrolled: 2-line block ×4, first 2 shown]
	v_lshl_or_b32 v5, v6, 16, v5
	v_lshl_or_b32 v6, v10, 16, v9
	;; [unrolled: 1-line block ×3, first 2 shown]
	s_wait_loadcnt 0x3
	v_perm_b32 v15, v29, v25, 0xc0c0004
	s_wait_loadcnt 0x2
	v_perm_b32 v16, v28, v30, 0xc0c0004
	;; [unrolled: 2-line block ×4, first 2 shown]
	v_lshl_or_b32 v3, v12, 16, v11
	v_lshl_or_b32 v1, v16, 16, v15
	s_delay_alu instid0(VALU_DEP_3)
	v_lshl_or_b32 v2, v18, 16, v17
	s_cbranch_scc1 .LBB77_5
; %bb.1:
	v_cmp_ne_u32_e32 vcc_lo, 0xff, v0
	s_branch .LBB77_3
.LBB77_2:                               ;   in Loop: Header=BB77_3 Depth=1
	s_or_b32 exec_lo, exec_lo, s1
	v_lshrrev_b32_e32 v33, 8, v7
	v_lshrrev_b32_e32 v16, 8, v8
	;; [unrolled: 1-line block ×3, first 2 shown]
	v_lshrrev_b64 v[11:12], 24, v[7:8]
	v_lshrrev_b64 v[12:13], 24, v[1:2]
	v_lshlrev_b16 v35, 1, v33
	v_lshrrev_b64 v[13:14], 24, v[3:4]
	v_lshrrev_b64 v[14:15], 24, v[5:6]
	v_lshrrev_b32_e32 v17, 16, v8
	v_lshrrev_b32_e32 v32, 24, v8
	v_lshlrev_b16 v15, 1, v34
	v_sub_nc_u16 v34, v35, v34
	v_lshlrev_b16 v35, 1, v16
	v_lshlrev_b16 v36, 1, v11
	v_lshlrev_b16 v37, 1, v32
	v_lshrrev_b32_e32 v31, 8, v5
	v_lshlrev_b16 v7, 1, v7
	v_sub_nc_u16 v35, v35, v17
	v_sub_nc_u16 v36, v36, v8
	;; [unrolled: 1-line block ×3, first 2 shown]
	v_lshlrev_b16 v17, 1, v17
	v_lshrrev_b32_e32 v18, 8, v6
	v_lshlrev_b16 v35, 8, v35
	v_lshrrev_b32_e32 v29, 24, v6
	v_lshrrev_b32_e32 v30, 16, v5
	v_sub_nc_u16 v7, v7, v33
	v_lshlrev_b16 v33, 8, v36
	v_lshlrev_b16 v36, 8, v37
	;; [unrolled: 1-line block ×3, first 2 shown]
	v_sub_nc_u16 v17, v17, v32
	v_lshrrev_b32_e32 v32, 8, v35
	v_lshlrev_b16 v35, 1, v31
	v_lshrrev_b32_e32 v19, 16, v6
	v_sub_nc_u16 v11, v15, v11
	v_lshrrev_b32_e32 v15, 8, v36
	v_sub_nc_u16 v8, v8, v16
	v_lshlrev_b16 v16, 1, v30
	v_lshlrev_b16 v36, 1, v14
	;; [unrolled: 1-line block ×3, first 2 shown]
	v_sub_nc_u16 v30, v35, v30
	v_lshlrev_b16 v35, 1, v18
	v_lshlrev_b16 v5, 1, v5
	v_sub_nc_u16 v36, v36, v6
	v_sub_nc_u16 v37, v37, v3
	v_lshrrev_b32_e32 v26, 24, v4
	v_sub_nc_u16 v35, v35, v19
	v_lshrrev_b32_e32 v27, 16, v3
	v_lshrrev_b32_e32 v28, 8, v3
	v_sub_nc_u16 v5, v5, v31
	v_lshlrev_b16 v31, 8, v36
	v_lshlrev_b16 v36, 8, v37
	;; [unrolled: 1-line block ×5, first 2 shown]
	v_lshrrev_b32_e32 v20, 8, v4
	v_lshrrev_b32_e32 v21, 16, v4
	v_sub_nc_u16 v14, v16, v14
	v_lshrrev_b32_e32 v16, 8, v36
	v_sub_nc_u16 v19, v19, v29
	v_lshrrev_b32_e32 v29, 8, v35
	v_lshlrev_b16 v35, 1, v28
	v_sub_nc_u16 v6, v6, v18
	v_lshlrev_b16 v18, 1, v27
	v_lshlrev_b16 v36, 1, v13
	;; [unrolled: 1-line block ×3, first 2 shown]
	v_sub_nc_u16 v27, v35, v27
	v_lshlrev_b16 v3, 1, v3
	v_lshlrev_b16 v35, 1, v20
	v_sub_nc_u16 v36, v36, v4
	v_sub_nc_u16 v37, v37, v1
	;; [unrolled: 1-line block ×3, first 2 shown]
	v_lshlrev_b16 v18, 1, v21
	v_lshrrev_b32_e32 v25, 8, v1
	v_sub_nc_u16 v3, v3, v28
	v_sub_nc_u16 v28, v35, v21
	v_lshlrev_b16 v35, 8, v36
	v_lshlrev_b16 v36, 8, v37
	v_sub_nc_u16 v18, v18, v26
	v_lshlrev_b16 v26, 1, v12
	v_lshrrev_b32_e32 v22, 8, v2
	v_lshrrev_b32_e32 v24, 16, v1
	v_lshlrev_b16 v34, 8, v34
	v_lshlrev_b16 v21, 8, v28
	;; [unrolled: 1-line block ×3, first 2 shown]
	v_lshrrev_b32_e32 v28, 8, v36
	v_lshlrev_b16 v36, 1, v25
	v_lshlrev_b16 v1, 1, v1
	v_sub_nc_u16 v26, v26, v2
	v_lshrrev_b32_e32 v23, 16, v2
	v_sub_nc_u16 v4, v4, v20
	v_sub_nc_u16 v20, v36, v24
	v_lshlrev_b16 v36, 1, v22
	v_sub_nc_u16 v1, v1, v25
	v_lshlrev_b16 v25, 8, v26
	v_lshrrev_b32_e32 v26, 8, v34
	v_lshlrev_b16 v30, 8, v30
	v_sub_nc_u16 v36, v36, v23
	v_lshlrev_b16 v23, 1, v23
	v_and_b32_e32 v7, 0xff, v7
	v_lshlrev_b16 v26, 8, v26
	v_lshlrev_b16 v24, 1, v24
	v_and_b32_e32 v8, 0xff, v8
	v_sub_nc_u16 v23, v23, v9
	v_add_nc_u16 v9, v10, v9
	v_or_b32_e32 v7, v7, v26
	v_perm_b32 v10, v11, v33, 0xc0c0104
	v_lshrrev_b32_e32 v11, 8, v30
	v_sub_nc_u16 v12, v24, v12
	v_lshlrev_b16 v24, 8, v32
	v_and_b32_e32 v7, 0xffff, v7
	v_and_b32_e32 v17, 0xff, v17
	v_lshlrev_b16 v15, 8, v15
	v_and_b32_e32 v5, 0xff, v5
	v_lshlrev_b16 v11, 8, v11
	v_lshlrev_b16 v27, 8, v27
	v_or_b32_e32 v8, v8, v24
	v_lshl_or_b32 v7, v10, 16, v7
	v_or_b32_e32 v10, v17, v15
	v_or_b32_e32 v5, v5, v11
	v_and_b32_e32 v6, 0xff, v6
	v_lshlrev_b16 v11, 8, v29
	v_lshrrev_b32_e32 v21, 8, v21
	v_lshlrev_b16 v20, 8, v20
	v_lshlrev_b16 v2, 1, v2
	;; [unrolled: 1-line block ×3, first 2 shown]
	v_and_b32_e32 v8, 0xffff, v8
	v_lshlrev_b32_e32 v10, 16, v10
	v_perm_b32 v14, v14, v31, 0xc0c0104
	v_and_b32_e32 v5, 0xffff, v5
	v_lshrrev_b32_e32 v15, 8, v27
	v_or_b32_e32 v6, v6, v11
	v_and_b32_e32 v11, 0xff, v19
	v_lshlrev_b16 v16, 8, v16
	v_sub_nc_u16 v2, v2, v22
	v_lshrrev_b32_e32 v22, 8, v34
	v_and_b32_e32 v3, 0xff, v3
	v_lshlrev_b16 v15, 8, v15
	v_or_b32_e32 v8, v8, v10
	v_lshl_or_b32 v5, v14, 16, v5
	v_or_b32_e32 v10, v11, v16
	v_and_b32_e32 v4, 0xff, v4
	v_lshlrev_b16 v11, 8, v21
	v_lshrrev_b32_e32 v14, 8, v20
	v_or_b32_e32 v3, v3, v15
	v_lshlrev_b16 v15, 8, v28
	v_and_b32_e32 v1, 0xff, v1
	v_or_b32_e32 v4, v4, v11
	v_and_b32_e32 v11, 0xff, v18
	v_lshlrev_b16 v14, 8, v14
	v_and_b32_e32 v2, 0xff, v2
	v_lshlrev_b16 v16, 8, v22
	v_lshlrev_b16 v9, 8, v9
	v_and_b32_e32 v17, 0xff, v23
	v_or_b32_e32 v11, v11, v15
	v_or_b32_e32 v1, v1, v14
	;; [unrolled: 1-line block ×3, first 2 shown]
	v_and_b32_e32 v6, 0xffff, v6
	v_or_b32_e32 v9, v17, v9
	v_lshlrev_b32_e32 v10, 16, v10
	v_perm_b32 v13, v13, v35, 0xc0c0104
	v_and_b32_e32 v3, 0xffff, v3
	v_and_b32_e32 v4, 0xffff, v4
	v_lshlrev_b32_e32 v11, 16, v11
	v_perm_b32 v12, v12, v25, 0xc0c0104
	v_and_b32_e32 v1, 0xffff, v1
	v_and_b32_e32 v2, 0xffff, v2
	v_lshlrev_b32_e32 v9, 16, v9
	v_or_b32_e32 v6, v6, v10
	v_lshl_or_b32 v3, v13, 16, v3
	v_or_b32_e32 v4, v4, v11
	v_lshl_or_b32 v1, v12, 16, v1
	v_or_b32_e32 v2, v2, v9
	s_add_co_i32 s0, s0, -1
	s_wait_loadcnt 0x0
	s_cmp_lg_u32 s0, 0
	s_barrier_signal -1
	s_barrier_wait -1
	global_inv scope:SCOPE_SE
	s_cbranch_scc0 .LBB77_5
.LBB77_3:                               ; =>This Inner Loop Header: Depth=1
	s_delay_alu instid0(VALU_DEP_2)
	v_lshrrev_b32_e32 v9, 24, v2
	ds_store_b8 v0, v7 offset:256
	s_wait_dscnt 0x0
	s_barrier_signal -1
	s_barrier_wait -1
	v_mov_b32_e32 v10, v9
	global_inv scope:SCOPE_SE
	s_and_saveexec_b32 s1, vcc_lo
	s_cbranch_execz .LBB77_2
; %bb.4:                                ;   in Loop: Header=BB77_3 Depth=1
	ds_load_u8 v10, v0 offset:257
	s_wait_dscnt 0x0
	v_sub_nc_u16 v10, v9, v10
	s_branch .LBB77_2
.LBB77_5:
	s_add_nc_u64 s[0:1], s[6:7], s[2:3]
	v_lshrrev_b32_e32 v11, 24, v7
	v_add_co_u32 v9, s0, s0, v0
	s_wait_alu 0xf1ff
	v_add_co_ci_u32_e64 v10, null, s1, 0, s0
	v_lshrrev_b32_e32 v0, 8, v7
	v_lshrrev_b32_e32 v12, 8, v8
	;; [unrolled: 1-line block ×3, first 2 shown]
	s_clause 0x7
	global_store_b8 v[9:10], v7, off
	global_store_b8 v[9:10], v0, off offset:256
	global_store_d16_hi_b8 v[9:10], v7, off offset:512
	global_store_b8 v[9:10], v11, off offset:768
	global_store_b8 v[9:10], v8, off offset:1024
	global_store_b8 v[9:10], v12, off offset:1280
	global_store_d16_hi_b8 v[9:10], v8, off offset:1536
	global_store_b8 v[9:10], v13, off offset:1792
	v_lshrrev_b32_e32 v0, 8, v5
	v_lshrrev_b32_e32 v7, 24, v5
	v_lshrrev_b32_e32 v8, 8, v6
	v_lshrrev_b32_e32 v11, 24, v6
	s_clause 0x7
	global_store_b8 v[9:10], v5, off offset:2048
	global_store_b8 v[9:10], v0, off offset:2304
	global_store_d16_hi_b8 v[9:10], v5, off offset:2560
	global_store_b8 v[9:10], v7, off offset:2816
	global_store_b8 v[9:10], v6, off offset:3072
	global_store_b8 v[9:10], v8, off offset:3328
	global_store_d16_hi_b8 v[9:10], v6, off offset:3584
	global_store_b8 v[9:10], v11, off offset:3840
	v_lshrrev_b32_e32 v0, 8, v3
	v_lshrrev_b32_e32 v5, 24, v3
	v_lshrrev_b32_e32 v6, 8, v4
	v_lshrrev_b32_e32 v7, 24, v4
	s_clause 0x7
	global_store_b8 v[9:10], v3, off offset:4096
	global_store_b8 v[9:10], v0, off offset:4352
	global_store_d16_hi_b8 v[9:10], v3, off offset:4608
	global_store_b8 v[9:10], v5, off offset:4864
	global_store_b8 v[9:10], v4, off offset:5120
	global_store_b8 v[9:10], v6, off offset:5376
	global_store_d16_hi_b8 v[9:10], v4, off offset:5632
	global_store_b8 v[9:10], v7, off offset:5888
	v_lshrrev_b32_e32 v0, 8, v1
	v_lshrrev_b32_e32 v3, 24, v1
	v_lshrrev_b32_e32 v4, 8, v2
	v_lshrrev_b32_e32 v5, 24, v2
	s_clause 0x7
	global_store_b8 v[9:10], v1, off offset:6144
	global_store_b8 v[9:10], v0, off offset:6400
	global_store_d16_hi_b8 v[9:10], v1, off offset:6656
	global_store_b8 v[9:10], v3, off offset:6912
	global_store_b8 v[9:10], v2, off offset:7168
	;; [unrolled: 1-line block ×3, first 2 shown]
	global_store_d16_hi_b8 v[9:10], v2, off offset:7680
	global_store_b8 v[9:10], v5, off offset:7936
	s_endpgm
	.section	.rodata,"a",@progbits
	.p2align	6, 0x0
	.amdhsa_kernel _Z6kernelI14subtract_rightLj256ELj32ELb0EJPaS1_jEEvDpT3_
		.amdhsa_group_segment_fixed_size 512
		.amdhsa_private_segment_fixed_size 0
		.amdhsa_kernarg_size 20
		.amdhsa_user_sgpr_count 2
		.amdhsa_user_sgpr_dispatch_ptr 0
		.amdhsa_user_sgpr_queue_ptr 0
		.amdhsa_user_sgpr_kernarg_segment_ptr 1
		.amdhsa_user_sgpr_dispatch_id 0
		.amdhsa_user_sgpr_private_segment_size 0
		.amdhsa_wavefront_size32 1
		.amdhsa_uses_dynamic_stack 0
		.amdhsa_enable_private_segment 0
		.amdhsa_system_sgpr_workgroup_id_x 1
		.amdhsa_system_sgpr_workgroup_id_y 0
		.amdhsa_system_sgpr_workgroup_id_z 0
		.amdhsa_system_sgpr_workgroup_info 0
		.amdhsa_system_vgpr_workitem_id 0
		.amdhsa_next_free_vgpr 38
		.amdhsa_next_free_sgpr 8
		.amdhsa_reserve_vcc 1
		.amdhsa_float_round_mode_32 0
		.amdhsa_float_round_mode_16_64 0
		.amdhsa_float_denorm_mode_32 3
		.amdhsa_float_denorm_mode_16_64 3
		.amdhsa_fp16_overflow 0
		.amdhsa_workgroup_processor_mode 1
		.amdhsa_memory_ordered 1
		.amdhsa_forward_progress 1
		.amdhsa_inst_pref_size 20
		.amdhsa_round_robin_scheduling 0
		.amdhsa_exception_fp_ieee_invalid_op 0
		.amdhsa_exception_fp_denorm_src 0
		.amdhsa_exception_fp_ieee_div_zero 0
		.amdhsa_exception_fp_ieee_overflow 0
		.amdhsa_exception_fp_ieee_underflow 0
		.amdhsa_exception_fp_ieee_inexact 0
		.amdhsa_exception_int_div_zero 0
	.end_amdhsa_kernel
	.section	.text._Z6kernelI14subtract_rightLj256ELj32ELb0EJPaS1_jEEvDpT3_,"axG",@progbits,_Z6kernelI14subtract_rightLj256ELj32ELb0EJPaS1_jEEvDpT3_,comdat
.Lfunc_end77:
	.size	_Z6kernelI14subtract_rightLj256ELj32ELb0EJPaS1_jEEvDpT3_, .Lfunc_end77-_Z6kernelI14subtract_rightLj256ELj32ELb0EJPaS1_jEEvDpT3_
                                        ; -- End function
	.set _Z6kernelI14subtract_rightLj256ELj32ELb0EJPaS1_jEEvDpT3_.num_vgpr, 38
	.set _Z6kernelI14subtract_rightLj256ELj32ELb0EJPaS1_jEEvDpT3_.num_agpr, 0
	.set _Z6kernelI14subtract_rightLj256ELj32ELb0EJPaS1_jEEvDpT3_.numbered_sgpr, 8
	.set _Z6kernelI14subtract_rightLj256ELj32ELb0EJPaS1_jEEvDpT3_.num_named_barrier, 0
	.set _Z6kernelI14subtract_rightLj256ELj32ELb0EJPaS1_jEEvDpT3_.private_seg_size, 0
	.set _Z6kernelI14subtract_rightLj256ELj32ELb0EJPaS1_jEEvDpT3_.uses_vcc, 1
	.set _Z6kernelI14subtract_rightLj256ELj32ELb0EJPaS1_jEEvDpT3_.uses_flat_scratch, 0
	.set _Z6kernelI14subtract_rightLj256ELj32ELb0EJPaS1_jEEvDpT3_.has_dyn_sized_stack, 0
	.set _Z6kernelI14subtract_rightLj256ELj32ELb0EJPaS1_jEEvDpT3_.has_recursion, 0
	.set _Z6kernelI14subtract_rightLj256ELj32ELb0EJPaS1_jEEvDpT3_.has_indirect_call, 0
	.section	.AMDGPU.csdata,"",@progbits
; Kernel info:
; codeLenInByte = 2560
; TotalNumSgprs: 10
; NumVgprs: 38
; ScratchSize: 0
; MemoryBound: 0
; FloatMode: 240
; IeeeMode: 1
; LDSByteSize: 512 bytes/workgroup (compile time only)
; SGPRBlocks: 0
; VGPRBlocks: 4
; NumSGPRsForWavesPerEU: 10
; NumVGPRsForWavesPerEU: 38
; Occupancy: 16
; WaveLimiterHint : 1
; COMPUTE_PGM_RSRC2:SCRATCH_EN: 0
; COMPUTE_PGM_RSRC2:USER_SGPR: 2
; COMPUTE_PGM_RSRC2:TRAP_HANDLER: 0
; COMPUTE_PGM_RSRC2:TGID_X_EN: 1
; COMPUTE_PGM_RSRC2:TGID_Y_EN: 0
; COMPUTE_PGM_RSRC2:TGID_Z_EN: 0
; COMPUTE_PGM_RSRC2:TIDIG_COMP_CNT: 0
	.section	.text._Z6kernelI14subtract_rightLj256ELj1ELb0EJPxS1_jEEvDpT3_,"axG",@progbits,_Z6kernelI14subtract_rightLj256ELj1ELb0EJPxS1_jEEvDpT3_,comdat
	.protected	_Z6kernelI14subtract_rightLj256ELj1ELb0EJPxS1_jEEvDpT3_ ; -- Begin function _Z6kernelI14subtract_rightLj256ELj1ELb0EJPxS1_jEEvDpT3_
	.globl	_Z6kernelI14subtract_rightLj256ELj1ELb0EJPxS1_jEEvDpT3_
	.p2align	8
	.type	_Z6kernelI14subtract_rightLj256ELj1ELb0EJPxS1_jEEvDpT3_,@function
_Z6kernelI14subtract_rightLj256ELj1ELb0EJPxS1_jEEvDpT3_: ; @_Z6kernelI14subtract_rightLj256ELj1ELb0EJPxS1_jEEvDpT3_
; %bb.0:
	s_load_b128 s[4:7], s[0:1], 0x0
	s_lshl_b32 s2, ttmp9, 8
	s_mov_b32 s3, 0
	v_lshlrev_b32_e32 v5, 3, v0
	s_lshl_b64 s[2:3], s[2:3], 3
	s_load_b32 s1, s[0:1], 0x10
	s_wait_kmcnt 0x0
	s_add_nc_u64 s[4:5], s[4:5], s[2:3]
	global_load_b64 v[1:2], v5, s[4:5]
	s_cmp_eq_u32 s1, 0
	s_cbranch_scc1 .LBB78_5
; %bb.1:
	v_cmp_ne_u32_e32 vcc_lo, 0xff, v0
	s_branch .LBB78_3
.LBB78_2:                               ;   in Loop: Header=BB78_3 Depth=1
	s_or_b32 exec_lo, exec_lo, s4
	v_add_co_u32 v1, s0, v3, v1
	s_wait_alu 0xf1ff
	v_add_co_ci_u32_e64 v2, null, v4, v2, s0
	s_add_co_i32 s1, s1, -1
	s_wait_loadcnt 0x0
	s_wait_alu 0xfffe
	s_cmp_lg_u32 s1, 0
	s_barrier_signal -1
	s_barrier_wait -1
	global_inv scope:SCOPE_SE
	s_cbranch_scc0 .LBB78_5
.LBB78_3:                               ; =>This Inner Loop Header: Depth=1
	s_wait_loadcnt 0x0
	v_dual_mov_b32 v4, v2 :: v_dual_mov_b32 v3, v1
	ds_store_b64 v5, v[1:2] offset:2048
	s_wait_dscnt 0x0
	s_barrier_signal -1
	s_barrier_wait -1
	global_inv scope:SCOPE_SE
	s_and_saveexec_b32 s4, vcc_lo
	s_cbranch_execz .LBB78_2
; %bb.4:                                ;   in Loop: Header=BB78_3 Depth=1
	ds_load_b64 v[3:4], v5 offset:2056
	s_wait_dscnt 0x0
	v_sub_co_u32 v3, s0, v1, v3
	s_wait_alu 0xf1ff
	v_sub_co_ci_u32_e64 v4, null, v2, v4, s0
	s_branch .LBB78_2
.LBB78_5:
	s_add_nc_u64 s[0:1], s[6:7], s[2:3]
	s_wait_loadcnt 0x0
	global_store_b64 v5, v[1:2], s[0:1]
	s_endpgm
	.section	.rodata,"a",@progbits
	.p2align	6, 0x0
	.amdhsa_kernel _Z6kernelI14subtract_rightLj256ELj1ELb0EJPxS1_jEEvDpT3_
		.amdhsa_group_segment_fixed_size 4096
		.amdhsa_private_segment_fixed_size 0
		.amdhsa_kernarg_size 20
		.amdhsa_user_sgpr_count 2
		.amdhsa_user_sgpr_dispatch_ptr 0
		.amdhsa_user_sgpr_queue_ptr 0
		.amdhsa_user_sgpr_kernarg_segment_ptr 1
		.amdhsa_user_sgpr_dispatch_id 0
		.amdhsa_user_sgpr_private_segment_size 0
		.amdhsa_wavefront_size32 1
		.amdhsa_uses_dynamic_stack 0
		.amdhsa_enable_private_segment 0
		.amdhsa_system_sgpr_workgroup_id_x 1
		.amdhsa_system_sgpr_workgroup_id_y 0
		.amdhsa_system_sgpr_workgroup_id_z 0
		.amdhsa_system_sgpr_workgroup_info 0
		.amdhsa_system_vgpr_workitem_id 0
		.amdhsa_next_free_vgpr 6
		.amdhsa_next_free_sgpr 8
		.amdhsa_reserve_vcc 1
		.amdhsa_float_round_mode_32 0
		.amdhsa_float_round_mode_16_64 0
		.amdhsa_float_denorm_mode_32 3
		.amdhsa_float_denorm_mode_16_64 3
		.amdhsa_fp16_overflow 0
		.amdhsa_workgroup_processor_mode 1
		.amdhsa_memory_ordered 1
		.amdhsa_forward_progress 1
		.amdhsa_inst_pref_size 2
		.amdhsa_round_robin_scheduling 0
		.amdhsa_exception_fp_ieee_invalid_op 0
		.amdhsa_exception_fp_denorm_src 0
		.amdhsa_exception_fp_ieee_div_zero 0
		.amdhsa_exception_fp_ieee_overflow 0
		.amdhsa_exception_fp_ieee_underflow 0
		.amdhsa_exception_fp_ieee_inexact 0
		.amdhsa_exception_int_div_zero 0
	.end_amdhsa_kernel
	.section	.text._Z6kernelI14subtract_rightLj256ELj1ELb0EJPxS1_jEEvDpT3_,"axG",@progbits,_Z6kernelI14subtract_rightLj256ELj1ELb0EJPxS1_jEEvDpT3_,comdat
.Lfunc_end78:
	.size	_Z6kernelI14subtract_rightLj256ELj1ELb0EJPxS1_jEEvDpT3_, .Lfunc_end78-_Z6kernelI14subtract_rightLj256ELj1ELb0EJPxS1_jEEvDpT3_
                                        ; -- End function
	.set _Z6kernelI14subtract_rightLj256ELj1ELb0EJPxS1_jEEvDpT3_.num_vgpr, 6
	.set _Z6kernelI14subtract_rightLj256ELj1ELb0EJPxS1_jEEvDpT3_.num_agpr, 0
	.set _Z6kernelI14subtract_rightLj256ELj1ELb0EJPxS1_jEEvDpT3_.numbered_sgpr, 8
	.set _Z6kernelI14subtract_rightLj256ELj1ELb0EJPxS1_jEEvDpT3_.num_named_barrier, 0
	.set _Z6kernelI14subtract_rightLj256ELj1ELb0EJPxS1_jEEvDpT3_.private_seg_size, 0
	.set _Z6kernelI14subtract_rightLj256ELj1ELb0EJPxS1_jEEvDpT3_.uses_vcc, 1
	.set _Z6kernelI14subtract_rightLj256ELj1ELb0EJPxS1_jEEvDpT3_.uses_flat_scratch, 0
	.set _Z6kernelI14subtract_rightLj256ELj1ELb0EJPxS1_jEEvDpT3_.has_dyn_sized_stack, 0
	.set _Z6kernelI14subtract_rightLj256ELj1ELb0EJPxS1_jEEvDpT3_.has_recursion, 0
	.set _Z6kernelI14subtract_rightLj256ELj1ELb0EJPxS1_jEEvDpT3_.has_indirect_call, 0
	.section	.AMDGPU.csdata,"",@progbits
; Kernel info:
; codeLenInByte = 248
; TotalNumSgprs: 10
; NumVgprs: 6
; ScratchSize: 0
; MemoryBound: 0
; FloatMode: 240
; IeeeMode: 1
; LDSByteSize: 4096 bytes/workgroup (compile time only)
; SGPRBlocks: 0
; VGPRBlocks: 0
; NumSGPRsForWavesPerEU: 10
; NumVGPRsForWavesPerEU: 6
; Occupancy: 16
; WaveLimiterHint : 0
; COMPUTE_PGM_RSRC2:SCRATCH_EN: 0
; COMPUTE_PGM_RSRC2:USER_SGPR: 2
; COMPUTE_PGM_RSRC2:TRAP_HANDLER: 0
; COMPUTE_PGM_RSRC2:TGID_X_EN: 1
; COMPUTE_PGM_RSRC2:TGID_Y_EN: 0
; COMPUTE_PGM_RSRC2:TGID_Z_EN: 0
; COMPUTE_PGM_RSRC2:TIDIG_COMP_CNT: 0
	.section	.text._Z6kernelI14subtract_rightLj256ELj3ELb0EJPxS1_jEEvDpT3_,"axG",@progbits,_Z6kernelI14subtract_rightLj256ELj3ELb0EJPxS1_jEEvDpT3_,comdat
	.protected	_Z6kernelI14subtract_rightLj256ELj3ELb0EJPxS1_jEEvDpT3_ ; -- Begin function _Z6kernelI14subtract_rightLj256ELj3ELb0EJPxS1_jEEvDpT3_
	.globl	_Z6kernelI14subtract_rightLj256ELj3ELb0EJPxS1_jEEvDpT3_
	.p2align	8
	.type	_Z6kernelI14subtract_rightLj256ELj3ELb0EJPxS1_jEEvDpT3_,@function
_Z6kernelI14subtract_rightLj256ELj3ELb0EJPxS1_jEEvDpT3_: ; @_Z6kernelI14subtract_rightLj256ELj3ELb0EJPxS1_jEEvDpT3_
; %bb.0:
	s_load_b128 s[4:7], s[0:1], 0x0
	s_mul_i32 s2, ttmp9, 0x300
	s_mov_b32 s3, 0
	v_lshlrev_b32_e32 v9, 3, v0
	s_lshl_b64 s[2:3], s[2:3], 3
	s_load_b32 s1, s[0:1], 0x10
	s_wait_kmcnt 0x0
	s_add_nc_u64 s[4:5], s[4:5], s[2:3]
	s_clause 0x2
	global_load_b64 v[5:6], v9, s[4:5]
	global_load_b64 v[3:4], v9, s[4:5] offset:2048
	global_load_b64 v[1:2], v9, s[4:5] offset:4096
	s_cmp_eq_u32 s1, 0
	s_cbranch_scc1 .LBB79_5
; %bb.1:
	v_cmp_ne_u32_e32 vcc_lo, 0xff, v0
	s_branch .LBB79_3
.LBB79_2:                               ;   in Loop: Header=BB79_3 Depth=1
	s_or_b32 exec_lo, exec_lo, s4
	v_lshlrev_b64_e32 v[5:6], 1, v[5:6]
	v_lshlrev_b64_e32 v[10:11], 1, v[3:4]
	s_add_co_i32 s1, s1, -1
	s_wait_loadcnt 0x0
	s_wait_alu 0xfffe
	s_cmp_lg_u32 s1, 0
	s_barrier_signal -1
	v_sub_co_u32 v5, s0, v5, v3
	s_wait_alu 0xf1ff
	v_sub_co_ci_u32_e64 v6, null, v6, v4, s0
	v_sub_co_u32 v3, s0, v10, v1
	s_wait_alu 0xf1ff
	v_sub_co_ci_u32_e64 v4, null, v11, v2, s0
	v_add_co_u32 v1, s0, v7, v1
	s_wait_alu 0xf1ff
	v_add_co_ci_u32_e64 v2, null, v8, v2, s0
	s_barrier_wait -1
	global_inv scope:SCOPE_SE
	s_cbranch_scc0 .LBB79_5
.LBB79_3:                               ; =>This Inner Loop Header: Depth=1
	s_wait_loadcnt 0x0
	v_dual_mov_b32 v8, v2 :: v_dual_mov_b32 v7, v1
	ds_store_b64 v9, v[5:6] offset:2048
	s_wait_dscnt 0x0
	s_barrier_signal -1
	s_barrier_wait -1
	global_inv scope:SCOPE_SE
	s_and_saveexec_b32 s4, vcc_lo
	s_cbranch_execz .LBB79_2
; %bb.4:                                ;   in Loop: Header=BB79_3 Depth=1
	ds_load_b64 v[7:8], v9 offset:2056
	s_wait_dscnt 0x0
	v_sub_co_u32 v7, s0, v1, v7
	s_wait_alu 0xf1ff
	v_sub_co_ci_u32_e64 v8, null, v2, v8, s0
	s_branch .LBB79_2
.LBB79_5:
	s_add_nc_u64 s[0:1], s[6:7], s[2:3]
	s_wait_loadcnt 0x2
	global_store_b64 v9, v[5:6], s[0:1]
	s_wait_loadcnt 0x1
	global_store_b64 v9, v[3:4], s[0:1] offset:2048
	s_wait_loadcnt 0x0
	global_store_b64 v9, v[1:2], s[0:1] offset:4096
	s_endpgm
	.section	.rodata,"a",@progbits
	.p2align	6, 0x0
	.amdhsa_kernel _Z6kernelI14subtract_rightLj256ELj3ELb0EJPxS1_jEEvDpT3_
		.amdhsa_group_segment_fixed_size 4096
		.amdhsa_private_segment_fixed_size 0
		.amdhsa_kernarg_size 20
		.amdhsa_user_sgpr_count 2
		.amdhsa_user_sgpr_dispatch_ptr 0
		.amdhsa_user_sgpr_queue_ptr 0
		.amdhsa_user_sgpr_kernarg_segment_ptr 1
		.amdhsa_user_sgpr_dispatch_id 0
		.amdhsa_user_sgpr_private_segment_size 0
		.amdhsa_wavefront_size32 1
		.amdhsa_uses_dynamic_stack 0
		.amdhsa_enable_private_segment 0
		.amdhsa_system_sgpr_workgroup_id_x 1
		.amdhsa_system_sgpr_workgroup_id_y 0
		.amdhsa_system_sgpr_workgroup_id_z 0
		.amdhsa_system_sgpr_workgroup_info 0
		.amdhsa_system_vgpr_workitem_id 0
		.amdhsa_next_free_vgpr 12
		.amdhsa_next_free_sgpr 8
		.amdhsa_reserve_vcc 1
		.amdhsa_float_round_mode_32 0
		.amdhsa_float_round_mode_16_64 0
		.amdhsa_float_denorm_mode_32 3
		.amdhsa_float_denorm_mode_16_64 3
		.amdhsa_fp16_overflow 0
		.amdhsa_workgroup_processor_mode 1
		.amdhsa_memory_ordered 1
		.amdhsa_forward_progress 1
		.amdhsa_inst_pref_size 3
		.amdhsa_round_robin_scheduling 0
		.amdhsa_exception_fp_ieee_invalid_op 0
		.amdhsa_exception_fp_denorm_src 0
		.amdhsa_exception_fp_ieee_div_zero 0
		.amdhsa_exception_fp_ieee_overflow 0
		.amdhsa_exception_fp_ieee_underflow 0
		.amdhsa_exception_fp_ieee_inexact 0
		.amdhsa_exception_int_div_zero 0
	.end_amdhsa_kernel
	.section	.text._Z6kernelI14subtract_rightLj256ELj3ELb0EJPxS1_jEEvDpT3_,"axG",@progbits,_Z6kernelI14subtract_rightLj256ELj3ELb0EJPxS1_jEEvDpT3_,comdat
.Lfunc_end79:
	.size	_Z6kernelI14subtract_rightLj256ELj3ELb0EJPxS1_jEEvDpT3_, .Lfunc_end79-_Z6kernelI14subtract_rightLj256ELj3ELb0EJPxS1_jEEvDpT3_
                                        ; -- End function
	.set _Z6kernelI14subtract_rightLj256ELj3ELb0EJPxS1_jEEvDpT3_.num_vgpr, 12
	.set _Z6kernelI14subtract_rightLj256ELj3ELb0EJPxS1_jEEvDpT3_.num_agpr, 0
	.set _Z6kernelI14subtract_rightLj256ELj3ELb0EJPxS1_jEEvDpT3_.numbered_sgpr, 8
	.set _Z6kernelI14subtract_rightLj256ELj3ELb0EJPxS1_jEEvDpT3_.num_named_barrier, 0
	.set _Z6kernelI14subtract_rightLj256ELj3ELb0EJPxS1_jEEvDpT3_.private_seg_size, 0
	.set _Z6kernelI14subtract_rightLj256ELj3ELb0EJPxS1_jEEvDpT3_.uses_vcc, 1
	.set _Z6kernelI14subtract_rightLj256ELj3ELb0EJPxS1_jEEvDpT3_.uses_flat_scratch, 0
	.set _Z6kernelI14subtract_rightLj256ELj3ELb0EJPxS1_jEEvDpT3_.has_dyn_sized_stack, 0
	.set _Z6kernelI14subtract_rightLj256ELj3ELb0EJPxS1_jEEvDpT3_.has_recursion, 0
	.set _Z6kernelI14subtract_rightLj256ELj3ELb0EJPxS1_jEEvDpT3_.has_indirect_call, 0
	.section	.AMDGPU.csdata,"",@progbits
; Kernel info:
; codeLenInByte = 360
; TotalNumSgprs: 10
; NumVgprs: 12
; ScratchSize: 0
; MemoryBound: 0
; FloatMode: 240
; IeeeMode: 1
; LDSByteSize: 4096 bytes/workgroup (compile time only)
; SGPRBlocks: 0
; VGPRBlocks: 1
; NumSGPRsForWavesPerEU: 10
; NumVGPRsForWavesPerEU: 12
; Occupancy: 16
; WaveLimiterHint : 1
; COMPUTE_PGM_RSRC2:SCRATCH_EN: 0
; COMPUTE_PGM_RSRC2:USER_SGPR: 2
; COMPUTE_PGM_RSRC2:TRAP_HANDLER: 0
; COMPUTE_PGM_RSRC2:TGID_X_EN: 1
; COMPUTE_PGM_RSRC2:TGID_Y_EN: 0
; COMPUTE_PGM_RSRC2:TGID_Z_EN: 0
; COMPUTE_PGM_RSRC2:TIDIG_COMP_CNT: 0
	.section	.text._Z6kernelI14subtract_rightLj256ELj4ELb0EJPxS1_jEEvDpT3_,"axG",@progbits,_Z6kernelI14subtract_rightLj256ELj4ELb0EJPxS1_jEEvDpT3_,comdat
	.protected	_Z6kernelI14subtract_rightLj256ELj4ELb0EJPxS1_jEEvDpT3_ ; -- Begin function _Z6kernelI14subtract_rightLj256ELj4ELb0EJPxS1_jEEvDpT3_
	.globl	_Z6kernelI14subtract_rightLj256ELj4ELb0EJPxS1_jEEvDpT3_
	.p2align	8
	.type	_Z6kernelI14subtract_rightLj256ELj4ELb0EJPxS1_jEEvDpT3_,@function
_Z6kernelI14subtract_rightLj256ELj4ELb0EJPxS1_jEEvDpT3_: ; @_Z6kernelI14subtract_rightLj256ELj4ELb0EJPxS1_jEEvDpT3_
; %bb.0:
	s_load_b128 s[4:7], s[0:1], 0x0
	s_lshl_b32 s2, ttmp9, 10
	s_mov_b32 s3, 0
	v_lshlrev_b32_e32 v11, 3, v0
	s_lshl_b64 s[2:3], s[2:3], 3
	s_load_b32 s1, s[0:1], 0x10
	s_wait_kmcnt 0x0
	s_add_nc_u64 s[4:5], s[4:5], s[2:3]
	s_clause 0x3
	global_load_b64 v[7:8], v11, s[4:5]
	global_load_b64 v[3:4], v11, s[4:5] offset:2048
	global_load_b64 v[5:6], v11, s[4:5] offset:4096
	;; [unrolled: 1-line block ×3, first 2 shown]
	s_cmp_eq_u32 s1, 0
	s_cbranch_scc1 .LBB80_5
; %bb.1:
	v_cmp_ne_u32_e32 vcc_lo, 0xff, v0
	s_branch .LBB80_3
.LBB80_2:                               ;   in Loop: Header=BB80_3 Depth=1
	s_or_b32 exec_lo, exec_lo, s4
	v_lshlrev_b64_e32 v[7:8], 1, v[7:8]
	v_lshlrev_b64_e32 v[12:13], 1, v[3:4]
	v_lshlrev_b64_e32 v[14:15], 1, v[5:6]
	s_add_co_i32 s1, s1, -1
	s_wait_loadcnt 0x0
	s_wait_alu 0xfffe
	s_cmp_lg_u32 s1, 0
	v_sub_co_u32 v7, s0, v7, v3
	s_wait_alu 0xf1ff
	v_sub_co_ci_u32_e64 v8, null, v8, v4, s0
	v_sub_co_u32 v3, s0, v12, v5
	s_wait_alu 0xf1ff
	v_sub_co_ci_u32_e64 v4, null, v13, v6, s0
	;; [unrolled: 3-line block ×3, first 2 shown]
	v_add_co_u32 v1, s0, v9, v1
	s_wait_alu 0xf1ff
	v_add_co_ci_u32_e64 v2, null, v10, v2, s0
	s_barrier_signal -1
	s_barrier_wait -1
	global_inv scope:SCOPE_SE
	s_cbranch_scc0 .LBB80_5
.LBB80_3:                               ; =>This Inner Loop Header: Depth=1
	s_wait_loadcnt 0x0
	v_dual_mov_b32 v10, v2 :: v_dual_mov_b32 v9, v1
	ds_store_b64 v11, v[7:8] offset:2048
	s_wait_dscnt 0x0
	s_barrier_signal -1
	s_barrier_wait -1
	global_inv scope:SCOPE_SE
	s_and_saveexec_b32 s4, vcc_lo
	s_cbranch_execz .LBB80_2
; %bb.4:                                ;   in Loop: Header=BB80_3 Depth=1
	ds_load_b64 v[9:10], v11 offset:2056
	s_wait_dscnt 0x0
	v_sub_co_u32 v9, s0, v1, v9
	s_wait_alu 0xf1ff
	v_sub_co_ci_u32_e64 v10, null, v2, v10, s0
	s_branch .LBB80_2
.LBB80_5:
	s_add_nc_u64 s[0:1], s[6:7], s[2:3]
	s_wait_loadcnt 0x3
	global_store_b64 v11, v[7:8], s[0:1]
	s_wait_loadcnt 0x2
	global_store_b64 v11, v[3:4], s[0:1] offset:2048
	s_wait_loadcnt 0x1
	global_store_b64 v11, v[5:6], s[0:1] offset:4096
	;; [unrolled: 2-line block ×3, first 2 shown]
	s_endpgm
	.section	.rodata,"a",@progbits
	.p2align	6, 0x0
	.amdhsa_kernel _Z6kernelI14subtract_rightLj256ELj4ELb0EJPxS1_jEEvDpT3_
		.amdhsa_group_segment_fixed_size 4096
		.amdhsa_private_segment_fixed_size 0
		.amdhsa_kernarg_size 20
		.amdhsa_user_sgpr_count 2
		.amdhsa_user_sgpr_dispatch_ptr 0
		.amdhsa_user_sgpr_queue_ptr 0
		.amdhsa_user_sgpr_kernarg_segment_ptr 1
		.amdhsa_user_sgpr_dispatch_id 0
		.amdhsa_user_sgpr_private_segment_size 0
		.amdhsa_wavefront_size32 1
		.amdhsa_uses_dynamic_stack 0
		.amdhsa_enable_private_segment 0
		.amdhsa_system_sgpr_workgroup_id_x 1
		.amdhsa_system_sgpr_workgroup_id_y 0
		.amdhsa_system_sgpr_workgroup_id_z 0
		.amdhsa_system_sgpr_workgroup_info 0
		.amdhsa_system_vgpr_workitem_id 0
		.amdhsa_next_free_vgpr 16
		.amdhsa_next_free_sgpr 8
		.amdhsa_reserve_vcc 1
		.amdhsa_float_round_mode_32 0
		.amdhsa_float_round_mode_16_64 0
		.amdhsa_float_denorm_mode_32 3
		.amdhsa_float_denorm_mode_16_64 3
		.amdhsa_fp16_overflow 0
		.amdhsa_workgroup_processor_mode 1
		.amdhsa_memory_ordered 1
		.amdhsa_forward_progress 1
		.amdhsa_inst_pref_size 4
		.amdhsa_round_robin_scheduling 0
		.amdhsa_exception_fp_ieee_invalid_op 0
		.amdhsa_exception_fp_denorm_src 0
		.amdhsa_exception_fp_ieee_div_zero 0
		.amdhsa_exception_fp_ieee_overflow 0
		.amdhsa_exception_fp_ieee_underflow 0
		.amdhsa_exception_fp_ieee_inexact 0
		.amdhsa_exception_int_div_zero 0
	.end_amdhsa_kernel
	.section	.text._Z6kernelI14subtract_rightLj256ELj4ELb0EJPxS1_jEEvDpT3_,"axG",@progbits,_Z6kernelI14subtract_rightLj256ELj4ELb0EJPxS1_jEEvDpT3_,comdat
.Lfunc_end80:
	.size	_Z6kernelI14subtract_rightLj256ELj4ELb0EJPxS1_jEEvDpT3_, .Lfunc_end80-_Z6kernelI14subtract_rightLj256ELj4ELb0EJPxS1_jEEvDpT3_
                                        ; -- End function
	.set _Z6kernelI14subtract_rightLj256ELj4ELb0EJPxS1_jEEvDpT3_.num_vgpr, 16
	.set _Z6kernelI14subtract_rightLj256ELj4ELb0EJPxS1_jEEvDpT3_.num_agpr, 0
	.set _Z6kernelI14subtract_rightLj256ELj4ELb0EJPxS1_jEEvDpT3_.numbered_sgpr, 8
	.set _Z6kernelI14subtract_rightLj256ELj4ELb0EJPxS1_jEEvDpT3_.num_named_barrier, 0
	.set _Z6kernelI14subtract_rightLj256ELj4ELb0EJPxS1_jEEvDpT3_.private_seg_size, 0
	.set _Z6kernelI14subtract_rightLj256ELj4ELb0EJPxS1_jEEvDpT3_.uses_vcc, 1
	.set _Z6kernelI14subtract_rightLj256ELj4ELb0EJPxS1_jEEvDpT3_.uses_flat_scratch, 0
	.set _Z6kernelI14subtract_rightLj256ELj4ELb0EJPxS1_jEEvDpT3_.has_dyn_sized_stack, 0
	.set _Z6kernelI14subtract_rightLj256ELj4ELb0EJPxS1_jEEvDpT3_.has_recursion, 0
	.set _Z6kernelI14subtract_rightLj256ELj4ELb0EJPxS1_jEEvDpT3_.has_indirect_call, 0
	.section	.AMDGPU.csdata,"",@progbits
; Kernel info:
; codeLenInByte = 408
; TotalNumSgprs: 10
; NumVgprs: 16
; ScratchSize: 0
; MemoryBound: 0
; FloatMode: 240
; IeeeMode: 1
; LDSByteSize: 4096 bytes/workgroup (compile time only)
; SGPRBlocks: 0
; VGPRBlocks: 1
; NumSGPRsForWavesPerEU: 10
; NumVGPRsForWavesPerEU: 16
; Occupancy: 16
; WaveLimiterHint : 1
; COMPUTE_PGM_RSRC2:SCRATCH_EN: 0
; COMPUTE_PGM_RSRC2:USER_SGPR: 2
; COMPUTE_PGM_RSRC2:TRAP_HANDLER: 0
; COMPUTE_PGM_RSRC2:TGID_X_EN: 1
; COMPUTE_PGM_RSRC2:TGID_Y_EN: 0
; COMPUTE_PGM_RSRC2:TGID_Z_EN: 0
; COMPUTE_PGM_RSRC2:TIDIG_COMP_CNT: 0
	.section	.text._Z6kernelI14subtract_rightLj256ELj8ELb0EJPxS1_jEEvDpT3_,"axG",@progbits,_Z6kernelI14subtract_rightLj256ELj8ELb0EJPxS1_jEEvDpT3_,comdat
	.protected	_Z6kernelI14subtract_rightLj256ELj8ELb0EJPxS1_jEEvDpT3_ ; -- Begin function _Z6kernelI14subtract_rightLj256ELj8ELb0EJPxS1_jEEvDpT3_
	.globl	_Z6kernelI14subtract_rightLj256ELj8ELb0EJPxS1_jEEvDpT3_
	.p2align	8
	.type	_Z6kernelI14subtract_rightLj256ELj8ELb0EJPxS1_jEEvDpT3_,@function
_Z6kernelI14subtract_rightLj256ELj8ELb0EJPxS1_jEEvDpT3_: ; @_Z6kernelI14subtract_rightLj256ELj8ELb0EJPxS1_jEEvDpT3_
; %bb.0:
	s_load_b128 s[4:7], s[0:1], 0x0
	s_lshl_b32 s2, ttmp9, 11
	s_mov_b32 s3, 0
	v_lshlrev_b32_e32 v19, 3, v0
	s_lshl_b64 s[2:3], s[2:3], 3
	s_load_b32 s1, s[0:1], 0x10
	s_wait_kmcnt 0x0
	s_add_nc_u64 s[4:5], s[4:5], s[2:3]
	s_clause 0x7
	global_load_b64 v[1:2], v19, s[4:5]
	global_load_b64 v[3:4], v19, s[4:5] offset:2048
	global_load_b64 v[5:6], v19, s[4:5] offset:4096
	global_load_b64 v[7:8], v19, s[4:5] offset:6144
	global_load_b64 v[9:10], v19, s[4:5] offset:8192
	global_load_b64 v[11:12], v19, s[4:5] offset:10240
	global_load_b64 v[13:14], v19, s[4:5] offset:12288
	global_load_b64 v[15:16], v19, s[4:5] offset:14336
	s_cmp_eq_u32 s1, 0
	s_cbranch_scc1 .LBB81_5
; %bb.1:
	v_cmp_ne_u32_e32 vcc_lo, 0xff, v0
	s_branch .LBB81_3
.LBB81_2:                               ;   in Loop: Header=BB81_3 Depth=1
	s_or_b32 exec_lo, exec_lo, s4
	v_sub_co_u32 v0, s0, v1, v3
	s_wait_alu 0xf1ff
	v_sub_co_ci_u32_e64 v20, null, v2, v4, s0
	v_sub_co_u32 v21, s0, v3, v5
	s_wait_alu 0xf1ff
	v_sub_co_ci_u32_e64 v22, null, v4, v6, s0
	;; [unrolled: 3-line block ×7, first 2 shown]
	v_add_co_u32 v1, s0, v0, v1
	s_wait_alu 0xf1ff
	v_add_co_ci_u32_e64 v2, null, v20, v2, s0
	v_add_co_u32 v3, s0, v21, v3
	s_wait_alu 0xf1ff
	v_add_co_ci_u32_e64 v4, null, v22, v4, s0
	;; [unrolled: 3-line block ×8, first 2 shown]
	s_add_co_i32 s1, s1, -1
	s_wait_loadcnt 0x0
	s_wait_alu 0xfffe
	s_cmp_lg_u32 s1, 0
	s_barrier_signal -1
	s_barrier_wait -1
	global_inv scope:SCOPE_SE
	s_cbranch_scc0 .LBB81_5
.LBB81_3:                               ; =>This Inner Loop Header: Depth=1
	s_wait_loadcnt 0x0
	v_dual_mov_b32 v18, v16 :: v_dual_mov_b32 v17, v15
	ds_store_b64 v19, v[1:2] offset:2048
	s_wait_dscnt 0x0
	s_barrier_signal -1
	s_barrier_wait -1
	global_inv scope:SCOPE_SE
	s_and_saveexec_b32 s4, vcc_lo
	s_cbranch_execz .LBB81_2
; %bb.4:                                ;   in Loop: Header=BB81_3 Depth=1
	ds_load_b64 v[17:18], v19 offset:2056
	s_wait_dscnt 0x0
	v_sub_co_u32 v17, s0, v15, v17
	s_wait_alu 0xf1ff
	v_sub_co_ci_u32_e64 v18, null, v16, v18, s0
	s_branch .LBB81_2
.LBB81_5:
	s_add_nc_u64 s[0:1], s[6:7], s[2:3]
	s_wait_loadcnt 0x7
	global_store_b64 v19, v[1:2], s[0:1]
	s_wait_loadcnt 0x6
	global_store_b64 v19, v[3:4], s[0:1] offset:2048
	s_wait_loadcnt 0x5
	global_store_b64 v19, v[5:6], s[0:1] offset:4096
	;; [unrolled: 2-line block ×7, first 2 shown]
	s_endpgm
	.section	.rodata,"a",@progbits
	.p2align	6, 0x0
	.amdhsa_kernel _Z6kernelI14subtract_rightLj256ELj8ELb0EJPxS1_jEEvDpT3_
		.amdhsa_group_segment_fixed_size 4096
		.amdhsa_private_segment_fixed_size 0
		.amdhsa_kernarg_size 20
		.amdhsa_user_sgpr_count 2
		.amdhsa_user_sgpr_dispatch_ptr 0
		.amdhsa_user_sgpr_queue_ptr 0
		.amdhsa_user_sgpr_kernarg_segment_ptr 1
		.amdhsa_user_sgpr_dispatch_id 0
		.amdhsa_user_sgpr_private_segment_size 0
		.amdhsa_wavefront_size32 1
		.amdhsa_uses_dynamic_stack 0
		.amdhsa_enable_private_segment 0
		.amdhsa_system_sgpr_workgroup_id_x 1
		.amdhsa_system_sgpr_workgroup_id_y 0
		.amdhsa_system_sgpr_workgroup_id_z 0
		.amdhsa_system_sgpr_workgroup_info 0
		.amdhsa_system_vgpr_workitem_id 0
		.amdhsa_next_free_vgpr 33
		.amdhsa_next_free_sgpr 8
		.amdhsa_reserve_vcc 1
		.amdhsa_float_round_mode_32 0
		.amdhsa_float_round_mode_16_64 0
		.amdhsa_float_denorm_mode_32 3
		.amdhsa_float_denorm_mode_16_64 3
		.amdhsa_fp16_overflow 0
		.amdhsa_workgroup_processor_mode 1
		.amdhsa_memory_ordered 1
		.amdhsa_forward_progress 1
		.amdhsa_inst_pref_size 6
		.amdhsa_round_robin_scheduling 0
		.amdhsa_exception_fp_ieee_invalid_op 0
		.amdhsa_exception_fp_denorm_src 0
		.amdhsa_exception_fp_ieee_div_zero 0
		.amdhsa_exception_fp_ieee_overflow 0
		.amdhsa_exception_fp_ieee_underflow 0
		.amdhsa_exception_fp_ieee_inexact 0
		.amdhsa_exception_int_div_zero 0
	.end_amdhsa_kernel
	.section	.text._Z6kernelI14subtract_rightLj256ELj8ELb0EJPxS1_jEEvDpT3_,"axG",@progbits,_Z6kernelI14subtract_rightLj256ELj8ELb0EJPxS1_jEEvDpT3_,comdat
.Lfunc_end81:
	.size	_Z6kernelI14subtract_rightLj256ELj8ELb0EJPxS1_jEEvDpT3_, .Lfunc_end81-_Z6kernelI14subtract_rightLj256ELj8ELb0EJPxS1_jEEvDpT3_
                                        ; -- End function
	.set _Z6kernelI14subtract_rightLj256ELj8ELb0EJPxS1_jEEvDpT3_.num_vgpr, 33
	.set _Z6kernelI14subtract_rightLj256ELj8ELb0EJPxS1_jEEvDpT3_.num_agpr, 0
	.set _Z6kernelI14subtract_rightLj256ELj8ELb0EJPxS1_jEEvDpT3_.numbered_sgpr, 8
	.set _Z6kernelI14subtract_rightLj256ELj8ELb0EJPxS1_jEEvDpT3_.num_named_barrier, 0
	.set _Z6kernelI14subtract_rightLj256ELj8ELb0EJPxS1_jEEvDpT3_.private_seg_size, 0
	.set _Z6kernelI14subtract_rightLj256ELj8ELb0EJPxS1_jEEvDpT3_.uses_vcc, 1
	.set _Z6kernelI14subtract_rightLj256ELj8ELb0EJPxS1_jEEvDpT3_.uses_flat_scratch, 0
	.set _Z6kernelI14subtract_rightLj256ELj8ELb0EJPxS1_jEEvDpT3_.has_dyn_sized_stack, 0
	.set _Z6kernelI14subtract_rightLj256ELj8ELb0EJPxS1_jEEvDpT3_.has_recursion, 0
	.set _Z6kernelI14subtract_rightLj256ELj8ELb0EJPxS1_jEEvDpT3_.has_indirect_call, 0
	.section	.AMDGPU.csdata,"",@progbits
; Kernel info:
; codeLenInByte = 728
; TotalNumSgprs: 10
; NumVgprs: 33
; ScratchSize: 0
; MemoryBound: 0
; FloatMode: 240
; IeeeMode: 1
; LDSByteSize: 4096 bytes/workgroup (compile time only)
; SGPRBlocks: 0
; VGPRBlocks: 4
; NumSGPRsForWavesPerEU: 10
; NumVGPRsForWavesPerEU: 33
; Occupancy: 16
; WaveLimiterHint : 1
; COMPUTE_PGM_RSRC2:SCRATCH_EN: 0
; COMPUTE_PGM_RSRC2:USER_SGPR: 2
; COMPUTE_PGM_RSRC2:TRAP_HANDLER: 0
; COMPUTE_PGM_RSRC2:TGID_X_EN: 1
; COMPUTE_PGM_RSRC2:TGID_Y_EN: 0
; COMPUTE_PGM_RSRC2:TGID_Z_EN: 0
; COMPUTE_PGM_RSRC2:TIDIG_COMP_CNT: 0
	.section	.text._Z6kernelI14subtract_rightLj256ELj16ELb0EJPxS1_jEEvDpT3_,"axG",@progbits,_Z6kernelI14subtract_rightLj256ELj16ELb0EJPxS1_jEEvDpT3_,comdat
	.protected	_Z6kernelI14subtract_rightLj256ELj16ELb0EJPxS1_jEEvDpT3_ ; -- Begin function _Z6kernelI14subtract_rightLj256ELj16ELb0EJPxS1_jEEvDpT3_
	.globl	_Z6kernelI14subtract_rightLj256ELj16ELb0EJPxS1_jEEvDpT3_
	.p2align	8
	.type	_Z6kernelI14subtract_rightLj256ELj16ELb0EJPxS1_jEEvDpT3_,@function
_Z6kernelI14subtract_rightLj256ELj16ELb0EJPxS1_jEEvDpT3_: ; @_Z6kernelI14subtract_rightLj256ELj16ELb0EJPxS1_jEEvDpT3_
; %bb.0:
	s_load_b128 s[4:7], s[0:1], 0x0
	s_lshl_b32 s2, ttmp9, 12
	s_mov_b32 s3, 0
	v_lshlrev_b32_e32 v35, 3, v0
	s_lshl_b64 s[2:3], s[2:3], 3
	s_load_b32 s1, s[0:1], 0x10
	s_wait_kmcnt 0x0
	s_add_nc_u64 s[4:5], s[4:5], s[2:3]
	s_clause 0xf
	global_load_b64 v[1:2], v35, s[4:5]
	global_load_b64 v[3:4], v35, s[4:5] offset:2048
	global_load_b64 v[5:6], v35, s[4:5] offset:4096
	;; [unrolled: 1-line block ×15, first 2 shown]
	s_cmp_eq_u32 s1, 0
	s_cbranch_scc1 .LBB82_5
; %bb.1:
	v_cmp_ne_u32_e32 vcc_lo, 0xff, v0
	s_branch .LBB82_3
.LBB82_2:                               ;   in Loop: Header=BB82_3 Depth=1
	s_or_b32 exec_lo, exec_lo, s4
	v_sub_co_u32 v0, s0, v1, v3
	s_wait_alu 0xf1ff
	v_sub_co_ci_u32_e64 v36, null, v2, v4, s0
	v_sub_co_u32 v37, s0, v3, v5
	s_wait_alu 0xf1ff
	v_sub_co_ci_u32_e64 v38, null, v4, v6, s0
	;; [unrolled: 3-line block ×15, first 2 shown]
	v_add_co_u32 v1, s0, v0, v1
	s_wait_alu 0xf1ff
	v_add_co_ci_u32_e64 v2, null, v36, v2, s0
	v_add_co_u32 v3, s0, v37, v3
	s_wait_alu 0xf1ff
	v_add_co_ci_u32_e64 v4, null, v38, v4, s0
	;; [unrolled: 3-line block ×16, first 2 shown]
	s_add_co_i32 s1, s1, -1
	s_wait_loadcnt 0x0
	s_wait_alu 0xfffe
	s_cmp_lg_u32 s1, 0
	s_barrier_signal -1
	s_barrier_wait -1
	global_inv scope:SCOPE_SE
	s_cbranch_scc0 .LBB82_5
.LBB82_3:                               ; =>This Inner Loop Header: Depth=1
	s_wait_loadcnt 0x0
	v_dual_mov_b32 v34, v32 :: v_dual_mov_b32 v33, v31
	ds_store_b64 v35, v[1:2] offset:2048
	s_wait_dscnt 0x0
	s_barrier_signal -1
	s_barrier_wait -1
	global_inv scope:SCOPE_SE
	s_and_saveexec_b32 s4, vcc_lo
	s_cbranch_execz .LBB82_2
; %bb.4:                                ;   in Loop: Header=BB82_3 Depth=1
	ds_load_b64 v[33:34], v35 offset:2056
	s_wait_dscnt 0x0
	v_sub_co_u32 v33, s0, v31, v33
	s_wait_alu 0xf1ff
	v_sub_co_ci_u32_e64 v34, null, v32, v34, s0
	s_branch .LBB82_2
.LBB82_5:
	s_add_nc_u64 s[0:1], s[6:7], s[2:3]
	s_wait_loadcnt 0xf
	global_store_b64 v35, v[1:2], s[0:1]
	s_wait_loadcnt 0xe
	global_store_b64 v35, v[3:4], s[0:1] offset:2048
	s_wait_loadcnt 0xd
	global_store_b64 v35, v[5:6], s[0:1] offset:4096
	;; [unrolled: 2-line block ×15, first 2 shown]
	s_endpgm
	.section	.rodata,"a",@progbits
	.p2align	6, 0x0
	.amdhsa_kernel _Z6kernelI14subtract_rightLj256ELj16ELb0EJPxS1_jEEvDpT3_
		.amdhsa_group_segment_fixed_size 4096
		.amdhsa_private_segment_fixed_size 0
		.amdhsa_kernarg_size 20
		.amdhsa_user_sgpr_count 2
		.amdhsa_user_sgpr_dispatch_ptr 0
		.amdhsa_user_sgpr_queue_ptr 0
		.amdhsa_user_sgpr_kernarg_segment_ptr 1
		.amdhsa_user_sgpr_dispatch_id 0
		.amdhsa_user_sgpr_private_segment_size 0
		.amdhsa_wavefront_size32 1
		.amdhsa_uses_dynamic_stack 0
		.amdhsa_enable_private_segment 0
		.amdhsa_system_sgpr_workgroup_id_x 1
		.amdhsa_system_sgpr_workgroup_id_y 0
		.amdhsa_system_sgpr_workgroup_id_z 0
		.amdhsa_system_sgpr_workgroup_info 0
		.amdhsa_system_vgpr_workitem_id 0
		.amdhsa_next_free_vgpr 65
		.amdhsa_next_free_sgpr 8
		.amdhsa_reserve_vcc 1
		.amdhsa_float_round_mode_32 0
		.amdhsa_float_round_mode_16_64 0
		.amdhsa_float_denorm_mode_32 3
		.amdhsa_float_denorm_mode_16_64 3
		.amdhsa_fp16_overflow 0
		.amdhsa_workgroup_processor_mode 1
		.amdhsa_memory_ordered 1
		.amdhsa_forward_progress 1
		.amdhsa_inst_pref_size 10
		.amdhsa_round_robin_scheduling 0
		.amdhsa_exception_fp_ieee_invalid_op 0
		.amdhsa_exception_fp_denorm_src 0
		.amdhsa_exception_fp_ieee_div_zero 0
		.amdhsa_exception_fp_ieee_overflow 0
		.amdhsa_exception_fp_ieee_underflow 0
		.amdhsa_exception_fp_ieee_inexact 0
		.amdhsa_exception_int_div_zero 0
	.end_amdhsa_kernel
	.section	.text._Z6kernelI14subtract_rightLj256ELj16ELb0EJPxS1_jEEvDpT3_,"axG",@progbits,_Z6kernelI14subtract_rightLj256ELj16ELb0EJPxS1_jEEvDpT3_,comdat
.Lfunc_end82:
	.size	_Z6kernelI14subtract_rightLj256ELj16ELb0EJPxS1_jEEvDpT3_, .Lfunc_end82-_Z6kernelI14subtract_rightLj256ELj16ELb0EJPxS1_jEEvDpT3_
                                        ; -- End function
	.set _Z6kernelI14subtract_rightLj256ELj16ELb0EJPxS1_jEEvDpT3_.num_vgpr, 65
	.set _Z6kernelI14subtract_rightLj256ELj16ELb0EJPxS1_jEEvDpT3_.num_agpr, 0
	.set _Z6kernelI14subtract_rightLj256ELj16ELb0EJPxS1_jEEvDpT3_.numbered_sgpr, 8
	.set _Z6kernelI14subtract_rightLj256ELj16ELb0EJPxS1_jEEvDpT3_.num_named_barrier, 0
	.set _Z6kernelI14subtract_rightLj256ELj16ELb0EJPxS1_jEEvDpT3_.private_seg_size, 0
	.set _Z6kernelI14subtract_rightLj256ELj16ELb0EJPxS1_jEEvDpT3_.uses_vcc, 1
	.set _Z6kernelI14subtract_rightLj256ELj16ELb0EJPxS1_jEEvDpT3_.uses_flat_scratch, 0
	.set _Z6kernelI14subtract_rightLj256ELj16ELb0EJPxS1_jEEvDpT3_.has_dyn_sized_stack, 0
	.set _Z6kernelI14subtract_rightLj256ELj16ELb0EJPxS1_jEEvDpT3_.has_recursion, 0
	.set _Z6kernelI14subtract_rightLj256ELj16ELb0EJPxS1_jEEvDpT3_.has_indirect_call, 0
	.section	.AMDGPU.csdata,"",@progbits
; Kernel info:
; codeLenInByte = 1272
; TotalNumSgprs: 10
; NumVgprs: 65
; ScratchSize: 0
; MemoryBound: 0
; FloatMode: 240
; IeeeMode: 1
; LDSByteSize: 4096 bytes/workgroup (compile time only)
; SGPRBlocks: 0
; VGPRBlocks: 8
; NumSGPRsForWavesPerEU: 10
; NumVGPRsForWavesPerEU: 65
; Occupancy: 16
; WaveLimiterHint : 1
; COMPUTE_PGM_RSRC2:SCRATCH_EN: 0
; COMPUTE_PGM_RSRC2:USER_SGPR: 2
; COMPUTE_PGM_RSRC2:TRAP_HANDLER: 0
; COMPUTE_PGM_RSRC2:TGID_X_EN: 1
; COMPUTE_PGM_RSRC2:TGID_Y_EN: 0
; COMPUTE_PGM_RSRC2:TGID_Z_EN: 0
; COMPUTE_PGM_RSRC2:TIDIG_COMP_CNT: 0
	.section	.text._Z6kernelI14subtract_rightLj256ELj32ELb0EJPxS1_jEEvDpT3_,"axG",@progbits,_Z6kernelI14subtract_rightLj256ELj32ELb0EJPxS1_jEEvDpT3_,comdat
	.protected	_Z6kernelI14subtract_rightLj256ELj32ELb0EJPxS1_jEEvDpT3_ ; -- Begin function _Z6kernelI14subtract_rightLj256ELj32ELb0EJPxS1_jEEvDpT3_
	.globl	_Z6kernelI14subtract_rightLj256ELj32ELb0EJPxS1_jEEvDpT3_
	.p2align	8
	.type	_Z6kernelI14subtract_rightLj256ELj32ELb0EJPxS1_jEEvDpT3_,@function
_Z6kernelI14subtract_rightLj256ELj32ELb0EJPxS1_jEEvDpT3_: ; @_Z6kernelI14subtract_rightLj256ELj32ELb0EJPxS1_jEEvDpT3_
; %bb.0:
	s_load_b128 s[4:7], s[0:1], 0x0
	s_lshl_b32 s2, ttmp9, 13
	s_mov_b32 s3, 0
	v_lshlrev_b32_e32 v67, 3, v0
	s_lshl_b64 s[2:3], s[2:3], 3
	s_load_b32 s1, s[0:1], 0x10
	s_wait_kmcnt 0x0
	s_add_nc_u64 s[4:5], s[4:5], s[2:3]
	s_clause 0x1f
	global_load_b64 v[1:2], v67, s[4:5]
	global_load_b64 v[3:4], v67, s[4:5] offset:2048
	global_load_b64 v[5:6], v67, s[4:5] offset:4096
	;; [unrolled: 1-line block ×31, first 2 shown]
	s_cmp_eq_u32 s1, 0
	s_cbranch_scc1 .LBB83_5
; %bb.1:
	v_cmp_ne_u32_e32 vcc_lo, 0xff, v0
	s_branch .LBB83_3
.LBB83_2:                               ;   in Loop: Header=BB83_3 Depth=1
	s_or_b32 exec_lo, exec_lo, s4
	v_sub_co_u32 v0, s0, v1, v3
	s_wait_alu 0xf1ff
	v_sub_co_ci_u32_e64 v68, null, v2, v4, s0
	v_sub_co_u32 v69, s0, v3, v5
	s_wait_alu 0xf1ff
	v_sub_co_ci_u32_e64 v70, null, v4, v6, s0
	;; [unrolled: 3-line block ×13, first 2 shown]
	v_add_co_u32 v1, s0, v0, v1
	s_wait_alu 0xf1ff
	v_add_co_ci_u32_e64 v2, null, v68, v2, s0
	v_sub_co_u32 v0, s0, v27, v29
	s_wait_alu 0xf1ff
	v_sub_co_ci_u32_e64 v68, null, v28, v30, s0
	v_add_co_u32 v3, s0, v69, v3
	s_wait_alu 0xf1ff
	v_add_co_ci_u32_e64 v4, null, v70, v4, s0
	v_sub_co_u32 v69, s0, v29, v31
	s_wait_alu 0xf1ff
	v_sub_co_ci_u32_e64 v70, null, v30, v32, s0
	;; [unrolled: 6-line block ×18, first 2 shown]
	v_add_co_u32 v37, s0, v77, v37
	s_wait_alu 0xf1ff
	v_add_co_ci_u32_e64 v38, null, v78, v38, s0
	v_add_co_u32 v39, s0, v79, v39
	s_wait_alu 0xf1ff
	v_add_co_ci_u32_e64 v40, null, v80, v40, s0
	;; [unrolled: 3-line block ×14, first 2 shown]
	s_add_co_i32 s1, s1, -1
	s_wait_loadcnt 0x0
	s_wait_alu 0xfffe
	s_cmp_lg_u32 s1, 0
	s_barrier_signal -1
	s_barrier_wait -1
	global_inv scope:SCOPE_SE
	s_cbranch_scc0 .LBB83_5
.LBB83_3:                               ; =>This Inner Loop Header: Depth=1
	s_wait_loadcnt 0x0
	v_dual_mov_b32 v66, v64 :: v_dual_mov_b32 v65, v63
	ds_store_b64 v67, v[1:2] offset:2048
	s_wait_dscnt 0x0
	s_barrier_signal -1
	s_barrier_wait -1
	global_inv scope:SCOPE_SE
	s_and_saveexec_b32 s4, vcc_lo
	s_cbranch_execz .LBB83_2
; %bb.4:                                ;   in Loop: Header=BB83_3 Depth=1
	ds_load_b64 v[65:66], v67 offset:2056
	s_wait_dscnt 0x0
	v_sub_co_u32 v65, s0, v63, v65
	s_wait_alu 0xf1ff
	v_sub_co_ci_u32_e64 v66, null, v64, v66, s0
	s_branch .LBB83_2
.LBB83_5:
	s_add_nc_u64 s[0:1], s[6:7], s[2:3]
	s_wait_loadcnt 0x1f
	global_store_b64 v67, v[1:2], s[0:1]
	s_wait_loadcnt 0x1e
	global_store_b64 v67, v[3:4], s[0:1] offset:2048
	s_wait_loadcnt 0x1d
	global_store_b64 v67, v[5:6], s[0:1] offset:4096
	;; [unrolled: 2-line block ×31, first 2 shown]
	s_endpgm
	.section	.rodata,"a",@progbits
	.p2align	6, 0x0
	.amdhsa_kernel _Z6kernelI14subtract_rightLj256ELj32ELb0EJPxS1_jEEvDpT3_
		.amdhsa_group_segment_fixed_size 4096
		.amdhsa_private_segment_fixed_size 0
		.amdhsa_kernarg_size 20
		.amdhsa_user_sgpr_count 2
		.amdhsa_user_sgpr_dispatch_ptr 0
		.amdhsa_user_sgpr_queue_ptr 0
		.amdhsa_user_sgpr_kernarg_segment_ptr 1
		.amdhsa_user_sgpr_dispatch_id 0
		.amdhsa_user_sgpr_private_segment_size 0
		.amdhsa_wavefront_size32 1
		.amdhsa_uses_dynamic_stack 0
		.amdhsa_enable_private_segment 0
		.amdhsa_system_sgpr_workgroup_id_x 1
		.amdhsa_system_sgpr_workgroup_id_y 0
		.amdhsa_system_sgpr_workgroup_id_z 0
		.amdhsa_system_sgpr_workgroup_info 0
		.amdhsa_system_vgpr_workitem_id 0
		.amdhsa_next_free_vgpr 93
		.amdhsa_next_free_sgpr 8
		.amdhsa_reserve_vcc 1
		.amdhsa_float_round_mode_32 0
		.amdhsa_float_round_mode_16_64 0
		.amdhsa_float_denorm_mode_32 3
		.amdhsa_float_denorm_mode_16_64 3
		.amdhsa_fp16_overflow 0
		.amdhsa_workgroup_processor_mode 1
		.amdhsa_memory_ordered 1
		.amdhsa_forward_progress 1
		.amdhsa_inst_pref_size 19
		.amdhsa_round_robin_scheduling 0
		.amdhsa_exception_fp_ieee_invalid_op 0
		.amdhsa_exception_fp_denorm_src 0
		.amdhsa_exception_fp_ieee_div_zero 0
		.amdhsa_exception_fp_ieee_overflow 0
		.amdhsa_exception_fp_ieee_underflow 0
		.amdhsa_exception_fp_ieee_inexact 0
		.amdhsa_exception_int_div_zero 0
	.end_amdhsa_kernel
	.section	.text._Z6kernelI14subtract_rightLj256ELj32ELb0EJPxS1_jEEvDpT3_,"axG",@progbits,_Z6kernelI14subtract_rightLj256ELj32ELb0EJPxS1_jEEvDpT3_,comdat
.Lfunc_end83:
	.size	_Z6kernelI14subtract_rightLj256ELj32ELb0EJPxS1_jEEvDpT3_, .Lfunc_end83-_Z6kernelI14subtract_rightLj256ELj32ELb0EJPxS1_jEEvDpT3_
                                        ; -- End function
	.set _Z6kernelI14subtract_rightLj256ELj32ELb0EJPxS1_jEEvDpT3_.num_vgpr, 93
	.set _Z6kernelI14subtract_rightLj256ELj32ELb0EJPxS1_jEEvDpT3_.num_agpr, 0
	.set _Z6kernelI14subtract_rightLj256ELj32ELb0EJPxS1_jEEvDpT3_.numbered_sgpr, 8
	.set _Z6kernelI14subtract_rightLj256ELj32ELb0EJPxS1_jEEvDpT3_.num_named_barrier, 0
	.set _Z6kernelI14subtract_rightLj256ELj32ELb0EJPxS1_jEEvDpT3_.private_seg_size, 0
	.set _Z6kernelI14subtract_rightLj256ELj32ELb0EJPxS1_jEEvDpT3_.uses_vcc, 1
	.set _Z6kernelI14subtract_rightLj256ELj32ELb0EJPxS1_jEEvDpT3_.uses_flat_scratch, 0
	.set _Z6kernelI14subtract_rightLj256ELj32ELb0EJPxS1_jEEvDpT3_.has_dyn_sized_stack, 0
	.set _Z6kernelI14subtract_rightLj256ELj32ELb0EJPxS1_jEEvDpT3_.has_recursion, 0
	.set _Z6kernelI14subtract_rightLj256ELj32ELb0EJPxS1_jEEvDpT3_.has_indirect_call, 0
	.section	.AMDGPU.csdata,"",@progbits
; Kernel info:
; codeLenInByte = 2360
; TotalNumSgprs: 10
; NumVgprs: 93
; ScratchSize: 0
; MemoryBound: 0
; FloatMode: 240
; IeeeMode: 1
; LDSByteSize: 4096 bytes/workgroup (compile time only)
; SGPRBlocks: 0
; VGPRBlocks: 11
; NumSGPRsForWavesPerEU: 10
; NumVGPRsForWavesPerEU: 93
; Occupancy: 16
; WaveLimiterHint : 1
; COMPUTE_PGM_RSRC2:SCRATCH_EN: 0
; COMPUTE_PGM_RSRC2:USER_SGPR: 2
; COMPUTE_PGM_RSRC2:TRAP_HANDLER: 0
; COMPUTE_PGM_RSRC2:TGID_X_EN: 1
; COMPUTE_PGM_RSRC2:TGID_Y_EN: 0
; COMPUTE_PGM_RSRC2:TGID_Z_EN: 0
; COMPUTE_PGM_RSRC2:TIDIG_COMP_CNT: 0
	.section	.text._Z6kernelI14subtract_rightLj256ELj1ELb0EJPdS1_jEEvDpT3_,"axG",@progbits,_Z6kernelI14subtract_rightLj256ELj1ELb0EJPdS1_jEEvDpT3_,comdat
	.protected	_Z6kernelI14subtract_rightLj256ELj1ELb0EJPdS1_jEEvDpT3_ ; -- Begin function _Z6kernelI14subtract_rightLj256ELj1ELb0EJPdS1_jEEvDpT3_
	.globl	_Z6kernelI14subtract_rightLj256ELj1ELb0EJPdS1_jEEvDpT3_
	.p2align	8
	.type	_Z6kernelI14subtract_rightLj256ELj1ELb0EJPdS1_jEEvDpT3_,@function
_Z6kernelI14subtract_rightLj256ELj1ELb0EJPdS1_jEEvDpT3_: ; @_Z6kernelI14subtract_rightLj256ELj1ELb0EJPdS1_jEEvDpT3_
; %bb.0:
	s_load_b128 s[4:7], s[0:1], 0x0
	s_lshl_b32 s2, ttmp9, 8
	s_mov_b32 s3, 0
	v_lshlrev_b32_e32 v5, 3, v0
	s_lshl_b64 s[2:3], s[2:3], 3
	s_load_b32 s0, s[0:1], 0x10
	s_wait_kmcnt 0x0
	s_add_nc_u64 s[4:5], s[4:5], s[2:3]
	global_load_b64 v[1:2], v5, s[4:5]
	s_cmp_eq_u32 s0, 0
	s_cbranch_scc1 .LBB84_5
; %bb.1:
	v_cmp_ne_u32_e32 vcc_lo, 0xff, v0
	s_branch .LBB84_3
.LBB84_2:                               ;   in Loop: Header=BB84_3 Depth=1
	s_or_b32 exec_lo, exec_lo, s1
	s_delay_alu instid0(VALU_DEP_1)
	v_add_f64_e32 v[1:2], v[1:2], v[3:4]
	s_add_co_i32 s0, s0, -1
	s_wait_loadcnt 0x0
	s_cmp_lg_u32 s0, 0
	s_barrier_signal -1
	s_barrier_wait -1
	global_inv scope:SCOPE_SE
	s_cbranch_scc0 .LBB84_5
.LBB84_3:                               ; =>This Inner Loop Header: Depth=1
	s_wait_loadcnt 0x0
	v_dual_mov_b32 v4, v2 :: v_dual_mov_b32 v3, v1
	ds_store_b64 v5, v[1:2] offset:2048
	s_wait_dscnt 0x0
	s_barrier_signal -1
	s_barrier_wait -1
	global_inv scope:SCOPE_SE
	s_and_saveexec_b32 s1, vcc_lo
	s_cbranch_execz .LBB84_2
; %bb.4:                                ;   in Loop: Header=BB84_3 Depth=1
	ds_load_b64 v[3:4], v5 offset:2056
	s_wait_dscnt 0x0
	v_add_f64_e64 v[3:4], v[1:2], -v[3:4]
	s_branch .LBB84_2
.LBB84_5:
	s_add_nc_u64 s[0:1], s[6:7], s[2:3]
	s_wait_loadcnt 0x0
	global_store_b64 v5, v[1:2], s[0:1]
	s_endpgm
	.section	.rodata,"a",@progbits
	.p2align	6, 0x0
	.amdhsa_kernel _Z6kernelI14subtract_rightLj256ELj1ELb0EJPdS1_jEEvDpT3_
		.amdhsa_group_segment_fixed_size 4096
		.amdhsa_private_segment_fixed_size 0
		.amdhsa_kernarg_size 20
		.amdhsa_user_sgpr_count 2
		.amdhsa_user_sgpr_dispatch_ptr 0
		.amdhsa_user_sgpr_queue_ptr 0
		.amdhsa_user_sgpr_kernarg_segment_ptr 1
		.amdhsa_user_sgpr_dispatch_id 0
		.amdhsa_user_sgpr_private_segment_size 0
		.amdhsa_wavefront_size32 1
		.amdhsa_uses_dynamic_stack 0
		.amdhsa_enable_private_segment 0
		.amdhsa_system_sgpr_workgroup_id_x 1
		.amdhsa_system_sgpr_workgroup_id_y 0
		.amdhsa_system_sgpr_workgroup_id_z 0
		.amdhsa_system_sgpr_workgroup_info 0
		.amdhsa_system_vgpr_workitem_id 0
		.amdhsa_next_free_vgpr 6
		.amdhsa_next_free_sgpr 8
		.amdhsa_reserve_vcc 1
		.amdhsa_float_round_mode_32 0
		.amdhsa_float_round_mode_16_64 0
		.amdhsa_float_denorm_mode_32 3
		.amdhsa_float_denorm_mode_16_64 3
		.amdhsa_fp16_overflow 0
		.amdhsa_workgroup_processor_mode 1
		.amdhsa_memory_ordered 1
		.amdhsa_forward_progress 1
		.amdhsa_inst_pref_size 2
		.amdhsa_round_robin_scheduling 0
		.amdhsa_exception_fp_ieee_invalid_op 0
		.amdhsa_exception_fp_denorm_src 0
		.amdhsa_exception_fp_ieee_div_zero 0
		.amdhsa_exception_fp_ieee_overflow 0
		.amdhsa_exception_fp_ieee_underflow 0
		.amdhsa_exception_fp_ieee_inexact 0
		.amdhsa_exception_int_div_zero 0
	.end_amdhsa_kernel
	.section	.text._Z6kernelI14subtract_rightLj256ELj1ELb0EJPdS1_jEEvDpT3_,"axG",@progbits,_Z6kernelI14subtract_rightLj256ELj1ELb0EJPdS1_jEEvDpT3_,comdat
.Lfunc_end84:
	.size	_Z6kernelI14subtract_rightLj256ELj1ELb0EJPdS1_jEEvDpT3_, .Lfunc_end84-_Z6kernelI14subtract_rightLj256ELj1ELb0EJPdS1_jEEvDpT3_
                                        ; -- End function
	.set _Z6kernelI14subtract_rightLj256ELj1ELb0EJPdS1_jEEvDpT3_.num_vgpr, 6
	.set _Z6kernelI14subtract_rightLj256ELj1ELb0EJPdS1_jEEvDpT3_.num_agpr, 0
	.set _Z6kernelI14subtract_rightLj256ELj1ELb0EJPdS1_jEEvDpT3_.numbered_sgpr, 8
	.set _Z6kernelI14subtract_rightLj256ELj1ELb0EJPdS1_jEEvDpT3_.num_named_barrier, 0
	.set _Z6kernelI14subtract_rightLj256ELj1ELb0EJPdS1_jEEvDpT3_.private_seg_size, 0
	.set _Z6kernelI14subtract_rightLj256ELj1ELb0EJPdS1_jEEvDpT3_.uses_vcc, 1
	.set _Z6kernelI14subtract_rightLj256ELj1ELb0EJPdS1_jEEvDpT3_.uses_flat_scratch, 0
	.set _Z6kernelI14subtract_rightLj256ELj1ELb0EJPdS1_jEEvDpT3_.has_dyn_sized_stack, 0
	.set _Z6kernelI14subtract_rightLj256ELj1ELb0EJPdS1_jEEvDpT3_.has_recursion, 0
	.set _Z6kernelI14subtract_rightLj256ELj1ELb0EJPdS1_jEEvDpT3_.has_indirect_call, 0
	.section	.AMDGPU.csdata,"",@progbits
; Kernel info:
; codeLenInByte = 220
; TotalNumSgprs: 10
; NumVgprs: 6
; ScratchSize: 0
; MemoryBound: 0
; FloatMode: 240
; IeeeMode: 1
; LDSByteSize: 4096 bytes/workgroup (compile time only)
; SGPRBlocks: 0
; VGPRBlocks: 0
; NumSGPRsForWavesPerEU: 10
; NumVGPRsForWavesPerEU: 6
; Occupancy: 16
; WaveLimiterHint : 0
; COMPUTE_PGM_RSRC2:SCRATCH_EN: 0
; COMPUTE_PGM_RSRC2:USER_SGPR: 2
; COMPUTE_PGM_RSRC2:TRAP_HANDLER: 0
; COMPUTE_PGM_RSRC2:TGID_X_EN: 1
; COMPUTE_PGM_RSRC2:TGID_Y_EN: 0
; COMPUTE_PGM_RSRC2:TGID_Z_EN: 0
; COMPUTE_PGM_RSRC2:TIDIG_COMP_CNT: 0
	.section	.text._Z6kernelI14subtract_rightLj256ELj3ELb0EJPdS1_jEEvDpT3_,"axG",@progbits,_Z6kernelI14subtract_rightLj256ELj3ELb0EJPdS1_jEEvDpT3_,comdat
	.protected	_Z6kernelI14subtract_rightLj256ELj3ELb0EJPdS1_jEEvDpT3_ ; -- Begin function _Z6kernelI14subtract_rightLj256ELj3ELb0EJPdS1_jEEvDpT3_
	.globl	_Z6kernelI14subtract_rightLj256ELj3ELb0EJPdS1_jEEvDpT3_
	.p2align	8
	.type	_Z6kernelI14subtract_rightLj256ELj3ELb0EJPdS1_jEEvDpT3_,@function
_Z6kernelI14subtract_rightLj256ELj3ELb0EJPdS1_jEEvDpT3_: ; @_Z6kernelI14subtract_rightLj256ELj3ELb0EJPdS1_jEEvDpT3_
; %bb.0:
	s_load_b128 s[4:7], s[0:1], 0x0
	s_mul_i32 s2, ttmp9, 0x300
	s_mov_b32 s3, 0
	v_lshlrev_b32_e32 v9, 3, v0
	s_lshl_b64 s[2:3], s[2:3], 3
	s_load_b32 s0, s[0:1], 0x10
	s_wait_kmcnt 0x0
	s_add_nc_u64 s[4:5], s[4:5], s[2:3]
	s_clause 0x2
	global_load_b64 v[5:6], v9, s[4:5]
	global_load_b64 v[3:4], v9, s[4:5] offset:2048
	global_load_b64 v[1:2], v9, s[4:5] offset:4096
	s_cmp_eq_u32 s0, 0
	s_cbranch_scc1 .LBB85_5
; %bb.1:
	v_cmp_ne_u32_e32 vcc_lo, 0xff, v0
	s_branch .LBB85_3
.LBB85_2:                               ;   in Loop: Header=BB85_3 Depth=1
	s_or_b32 exec_lo, exec_lo, s1
	v_add_f64_e64 v[10:11], v[5:6], -v[3:4]
	v_add_f64_e64 v[12:13], v[3:4], -v[1:2]
	s_delay_alu instid0(VALU_DEP_3)
	v_add_f64_e32 v[1:2], v[1:2], v[7:8]
	s_add_co_i32 s0, s0, -1
	s_wait_loadcnt 0x0
	s_cmp_lg_u32 s0, 0
	s_barrier_signal -1
	s_barrier_wait -1
	global_inv scope:SCOPE_SE
	v_add_f64_e32 v[5:6], v[5:6], v[10:11]
	v_add_f64_e32 v[3:4], v[3:4], v[12:13]
	s_cbranch_scc0 .LBB85_5
.LBB85_3:                               ; =>This Inner Loop Header: Depth=1
	s_wait_loadcnt 0x0
	v_dual_mov_b32 v8, v2 :: v_dual_mov_b32 v7, v1
	ds_store_b64 v9, v[5:6] offset:2048
	s_wait_dscnt 0x0
	s_barrier_signal -1
	s_barrier_wait -1
	global_inv scope:SCOPE_SE
	s_and_saveexec_b32 s1, vcc_lo
	s_cbranch_execz .LBB85_2
; %bb.4:                                ;   in Loop: Header=BB85_3 Depth=1
	ds_load_b64 v[7:8], v9 offset:2056
	s_wait_dscnt 0x0
	v_add_f64_e64 v[7:8], v[1:2], -v[7:8]
	s_branch .LBB85_2
.LBB85_5:
	s_add_nc_u64 s[0:1], s[6:7], s[2:3]
	s_wait_loadcnt 0x2
	global_store_b64 v9, v[5:6], s[0:1]
	s_wait_loadcnt 0x1
	global_store_b64 v9, v[3:4], s[0:1] offset:2048
	s_wait_loadcnt 0x0
	global_store_b64 v9, v[1:2], s[0:1] offset:4096
	s_endpgm
	.section	.rodata,"a",@progbits
	.p2align	6, 0x0
	.amdhsa_kernel _Z6kernelI14subtract_rightLj256ELj3ELb0EJPdS1_jEEvDpT3_
		.amdhsa_group_segment_fixed_size 4096
		.amdhsa_private_segment_fixed_size 0
		.amdhsa_kernarg_size 20
		.amdhsa_user_sgpr_count 2
		.amdhsa_user_sgpr_dispatch_ptr 0
		.amdhsa_user_sgpr_queue_ptr 0
		.amdhsa_user_sgpr_kernarg_segment_ptr 1
		.amdhsa_user_sgpr_dispatch_id 0
		.amdhsa_user_sgpr_private_segment_size 0
		.amdhsa_wavefront_size32 1
		.amdhsa_uses_dynamic_stack 0
		.amdhsa_enable_private_segment 0
		.amdhsa_system_sgpr_workgroup_id_x 1
		.amdhsa_system_sgpr_workgroup_id_y 0
		.amdhsa_system_sgpr_workgroup_id_z 0
		.amdhsa_system_sgpr_workgroup_info 0
		.amdhsa_system_vgpr_workitem_id 0
		.amdhsa_next_free_vgpr 14
		.amdhsa_next_free_sgpr 8
		.amdhsa_reserve_vcc 1
		.amdhsa_float_round_mode_32 0
		.amdhsa_float_round_mode_16_64 0
		.amdhsa_float_denorm_mode_32 3
		.amdhsa_float_denorm_mode_16_64 3
		.amdhsa_fp16_overflow 0
		.amdhsa_workgroup_processor_mode 1
		.amdhsa_memory_ordered 1
		.amdhsa_forward_progress 1
		.amdhsa_inst_pref_size 3
		.amdhsa_round_robin_scheduling 0
		.amdhsa_exception_fp_ieee_invalid_op 0
		.amdhsa_exception_fp_denorm_src 0
		.amdhsa_exception_fp_ieee_div_zero 0
		.amdhsa_exception_fp_ieee_overflow 0
		.amdhsa_exception_fp_ieee_underflow 0
		.amdhsa_exception_fp_ieee_inexact 0
		.amdhsa_exception_int_div_zero 0
	.end_amdhsa_kernel
	.section	.text._Z6kernelI14subtract_rightLj256ELj3ELb0EJPdS1_jEEvDpT3_,"axG",@progbits,_Z6kernelI14subtract_rightLj256ELj3ELb0EJPdS1_jEEvDpT3_,comdat
.Lfunc_end85:
	.size	_Z6kernelI14subtract_rightLj256ELj3ELb0EJPdS1_jEEvDpT3_, .Lfunc_end85-_Z6kernelI14subtract_rightLj256ELj3ELb0EJPdS1_jEEvDpT3_
                                        ; -- End function
	.set _Z6kernelI14subtract_rightLj256ELj3ELb0EJPdS1_jEEvDpT3_.num_vgpr, 14
	.set _Z6kernelI14subtract_rightLj256ELj3ELb0EJPdS1_jEEvDpT3_.num_agpr, 0
	.set _Z6kernelI14subtract_rightLj256ELj3ELb0EJPdS1_jEEvDpT3_.numbered_sgpr, 8
	.set _Z6kernelI14subtract_rightLj256ELj3ELb0EJPdS1_jEEvDpT3_.num_named_barrier, 0
	.set _Z6kernelI14subtract_rightLj256ELj3ELb0EJPdS1_jEEvDpT3_.private_seg_size, 0
	.set _Z6kernelI14subtract_rightLj256ELj3ELb0EJPdS1_jEEvDpT3_.uses_vcc, 1
	.set _Z6kernelI14subtract_rightLj256ELj3ELb0EJPdS1_jEEvDpT3_.uses_flat_scratch, 0
	.set _Z6kernelI14subtract_rightLj256ELj3ELb0EJPdS1_jEEvDpT3_.has_dyn_sized_stack, 0
	.set _Z6kernelI14subtract_rightLj256ELj3ELb0EJPdS1_jEEvDpT3_.has_recursion, 0
	.set _Z6kernelI14subtract_rightLj256ELj3ELb0EJPdS1_jEEvDpT3_.has_indirect_call, 0
	.section	.AMDGPU.csdata,"",@progbits
; Kernel info:
; codeLenInByte = 308
; TotalNumSgprs: 10
; NumVgprs: 14
; ScratchSize: 0
; MemoryBound: 0
; FloatMode: 240
; IeeeMode: 1
; LDSByteSize: 4096 bytes/workgroup (compile time only)
; SGPRBlocks: 0
; VGPRBlocks: 1
; NumSGPRsForWavesPerEU: 10
; NumVGPRsForWavesPerEU: 14
; Occupancy: 16
; WaveLimiterHint : 1
; COMPUTE_PGM_RSRC2:SCRATCH_EN: 0
; COMPUTE_PGM_RSRC2:USER_SGPR: 2
; COMPUTE_PGM_RSRC2:TRAP_HANDLER: 0
; COMPUTE_PGM_RSRC2:TGID_X_EN: 1
; COMPUTE_PGM_RSRC2:TGID_Y_EN: 0
; COMPUTE_PGM_RSRC2:TGID_Z_EN: 0
; COMPUTE_PGM_RSRC2:TIDIG_COMP_CNT: 0
	.section	.text._Z6kernelI14subtract_rightLj256ELj4ELb0EJPdS1_jEEvDpT3_,"axG",@progbits,_Z6kernelI14subtract_rightLj256ELj4ELb0EJPdS1_jEEvDpT3_,comdat
	.protected	_Z6kernelI14subtract_rightLj256ELj4ELb0EJPdS1_jEEvDpT3_ ; -- Begin function _Z6kernelI14subtract_rightLj256ELj4ELb0EJPdS1_jEEvDpT3_
	.globl	_Z6kernelI14subtract_rightLj256ELj4ELb0EJPdS1_jEEvDpT3_
	.p2align	8
	.type	_Z6kernelI14subtract_rightLj256ELj4ELb0EJPdS1_jEEvDpT3_,@function
_Z6kernelI14subtract_rightLj256ELj4ELb0EJPdS1_jEEvDpT3_: ; @_Z6kernelI14subtract_rightLj256ELj4ELb0EJPdS1_jEEvDpT3_
; %bb.0:
	s_load_b128 s[4:7], s[0:1], 0x0
	s_lshl_b32 s2, ttmp9, 10
	s_mov_b32 s3, 0
	v_lshlrev_b32_e32 v11, 3, v0
	s_lshl_b64 s[2:3], s[2:3], 3
	s_load_b32 s0, s[0:1], 0x10
	s_wait_kmcnt 0x0
	s_add_nc_u64 s[4:5], s[4:5], s[2:3]
	s_clause 0x3
	global_load_b64 v[7:8], v11, s[4:5]
	global_load_b64 v[5:6], v11, s[4:5] offset:2048
	global_load_b64 v[3:4], v11, s[4:5] offset:4096
	;; [unrolled: 1-line block ×3, first 2 shown]
	s_cmp_eq_u32 s0, 0
	s_cbranch_scc1 .LBB86_5
; %bb.1:
	v_cmp_ne_u32_e32 vcc_lo, 0xff, v0
	s_branch .LBB86_3
.LBB86_2:                               ;   in Loop: Header=BB86_3 Depth=1
	s_or_b32 exec_lo, exec_lo, s1
	v_add_f64_e64 v[12:13], v[7:8], -v[5:6]
	v_add_f64_e64 v[14:15], v[5:6], -v[3:4]
	;; [unrolled: 1-line block ×3, first 2 shown]
	s_delay_alu instid0(VALU_DEP_4)
	v_add_f64_e32 v[1:2], v[1:2], v[9:10]
	s_add_co_i32 s0, s0, -1
	s_wait_loadcnt 0x0
	s_cmp_lg_u32 s0, 0
	s_barrier_signal -1
	s_barrier_wait -1
	global_inv scope:SCOPE_SE
	v_add_f64_e32 v[7:8], v[7:8], v[12:13]
	v_add_f64_e32 v[5:6], v[5:6], v[14:15]
	;; [unrolled: 1-line block ×3, first 2 shown]
	s_cbranch_scc0 .LBB86_5
.LBB86_3:                               ; =>This Inner Loop Header: Depth=1
	s_wait_loadcnt 0x0
	v_dual_mov_b32 v10, v2 :: v_dual_mov_b32 v9, v1
	ds_store_b64 v11, v[7:8] offset:2048
	s_wait_dscnt 0x0
	s_barrier_signal -1
	s_barrier_wait -1
	global_inv scope:SCOPE_SE
	s_and_saveexec_b32 s1, vcc_lo
	s_cbranch_execz .LBB86_2
; %bb.4:                                ;   in Loop: Header=BB86_3 Depth=1
	ds_load_b64 v[9:10], v11 offset:2056
	s_wait_dscnt 0x0
	v_add_f64_e64 v[9:10], v[1:2], -v[9:10]
	s_branch .LBB86_2
.LBB86_5:
	s_add_nc_u64 s[0:1], s[6:7], s[2:3]
	s_wait_loadcnt 0x3
	global_store_b64 v11, v[7:8], s[0:1]
	s_wait_loadcnt 0x2
	global_store_b64 v11, v[5:6], s[0:1] offset:2048
	s_wait_loadcnt 0x1
	global_store_b64 v11, v[3:4], s[0:1] offset:4096
	;; [unrolled: 2-line block ×3, first 2 shown]
	s_endpgm
	.section	.rodata,"a",@progbits
	.p2align	6, 0x0
	.amdhsa_kernel _Z6kernelI14subtract_rightLj256ELj4ELb0EJPdS1_jEEvDpT3_
		.amdhsa_group_segment_fixed_size 4096
		.amdhsa_private_segment_fixed_size 0
		.amdhsa_kernarg_size 20
		.amdhsa_user_sgpr_count 2
		.amdhsa_user_sgpr_dispatch_ptr 0
		.amdhsa_user_sgpr_queue_ptr 0
		.amdhsa_user_sgpr_kernarg_segment_ptr 1
		.amdhsa_user_sgpr_dispatch_id 0
		.amdhsa_user_sgpr_private_segment_size 0
		.amdhsa_wavefront_size32 1
		.amdhsa_uses_dynamic_stack 0
		.amdhsa_enable_private_segment 0
		.amdhsa_system_sgpr_workgroup_id_x 1
		.amdhsa_system_sgpr_workgroup_id_y 0
		.amdhsa_system_sgpr_workgroup_id_z 0
		.amdhsa_system_sgpr_workgroup_info 0
		.amdhsa_system_vgpr_workitem_id 0
		.amdhsa_next_free_vgpr 18
		.amdhsa_next_free_sgpr 8
		.amdhsa_reserve_vcc 1
		.amdhsa_float_round_mode_32 0
		.amdhsa_float_round_mode_16_64 0
		.amdhsa_float_denorm_mode_32 3
		.amdhsa_float_denorm_mode_16_64 3
		.amdhsa_fp16_overflow 0
		.amdhsa_workgroup_processor_mode 1
		.amdhsa_memory_ordered 1
		.amdhsa_forward_progress 1
		.amdhsa_inst_pref_size 3
		.amdhsa_round_robin_scheduling 0
		.amdhsa_exception_fp_ieee_invalid_op 0
		.amdhsa_exception_fp_denorm_src 0
		.amdhsa_exception_fp_ieee_div_zero 0
		.amdhsa_exception_fp_ieee_overflow 0
		.amdhsa_exception_fp_ieee_underflow 0
		.amdhsa_exception_fp_ieee_inexact 0
		.amdhsa_exception_int_div_zero 0
	.end_amdhsa_kernel
	.section	.text._Z6kernelI14subtract_rightLj256ELj4ELb0EJPdS1_jEEvDpT3_,"axG",@progbits,_Z6kernelI14subtract_rightLj256ELj4ELb0EJPdS1_jEEvDpT3_,comdat
.Lfunc_end86:
	.size	_Z6kernelI14subtract_rightLj256ELj4ELb0EJPdS1_jEEvDpT3_, .Lfunc_end86-_Z6kernelI14subtract_rightLj256ELj4ELb0EJPdS1_jEEvDpT3_
                                        ; -- End function
	.set _Z6kernelI14subtract_rightLj256ELj4ELb0EJPdS1_jEEvDpT3_.num_vgpr, 18
	.set _Z6kernelI14subtract_rightLj256ELj4ELb0EJPdS1_jEEvDpT3_.num_agpr, 0
	.set _Z6kernelI14subtract_rightLj256ELj4ELb0EJPdS1_jEEvDpT3_.numbered_sgpr, 8
	.set _Z6kernelI14subtract_rightLj256ELj4ELb0EJPdS1_jEEvDpT3_.num_named_barrier, 0
	.set _Z6kernelI14subtract_rightLj256ELj4ELb0EJPdS1_jEEvDpT3_.private_seg_size, 0
	.set _Z6kernelI14subtract_rightLj256ELj4ELb0EJPdS1_jEEvDpT3_.uses_vcc, 1
	.set _Z6kernelI14subtract_rightLj256ELj4ELb0EJPdS1_jEEvDpT3_.uses_flat_scratch, 0
	.set _Z6kernelI14subtract_rightLj256ELj4ELb0EJPdS1_jEEvDpT3_.has_dyn_sized_stack, 0
	.set _Z6kernelI14subtract_rightLj256ELj4ELb0EJPdS1_jEEvDpT3_.has_recursion, 0
	.set _Z6kernelI14subtract_rightLj256ELj4ELb0EJPdS1_jEEvDpT3_.has_indirect_call, 0
	.section	.AMDGPU.csdata,"",@progbits
; Kernel info:
; codeLenInByte = 344
; TotalNumSgprs: 10
; NumVgprs: 18
; ScratchSize: 0
; MemoryBound: 0
; FloatMode: 240
; IeeeMode: 1
; LDSByteSize: 4096 bytes/workgroup (compile time only)
; SGPRBlocks: 0
; VGPRBlocks: 2
; NumSGPRsForWavesPerEU: 10
; NumVGPRsForWavesPerEU: 18
; Occupancy: 16
; WaveLimiterHint : 1
; COMPUTE_PGM_RSRC2:SCRATCH_EN: 0
; COMPUTE_PGM_RSRC2:USER_SGPR: 2
; COMPUTE_PGM_RSRC2:TRAP_HANDLER: 0
; COMPUTE_PGM_RSRC2:TGID_X_EN: 1
; COMPUTE_PGM_RSRC2:TGID_Y_EN: 0
; COMPUTE_PGM_RSRC2:TGID_Z_EN: 0
; COMPUTE_PGM_RSRC2:TIDIG_COMP_CNT: 0
	.section	.text._Z6kernelI14subtract_rightLj256ELj8ELb0EJPdS1_jEEvDpT3_,"axG",@progbits,_Z6kernelI14subtract_rightLj256ELj8ELb0EJPdS1_jEEvDpT3_,comdat
	.protected	_Z6kernelI14subtract_rightLj256ELj8ELb0EJPdS1_jEEvDpT3_ ; -- Begin function _Z6kernelI14subtract_rightLj256ELj8ELb0EJPdS1_jEEvDpT3_
	.globl	_Z6kernelI14subtract_rightLj256ELj8ELb0EJPdS1_jEEvDpT3_
	.p2align	8
	.type	_Z6kernelI14subtract_rightLj256ELj8ELb0EJPdS1_jEEvDpT3_,@function
_Z6kernelI14subtract_rightLj256ELj8ELb0EJPdS1_jEEvDpT3_: ; @_Z6kernelI14subtract_rightLj256ELj8ELb0EJPdS1_jEEvDpT3_
; %bb.0:
	s_load_b128 s[4:7], s[0:1], 0x0
	s_lshl_b32 s2, ttmp9, 11
	s_mov_b32 s3, 0
	v_lshlrev_b32_e32 v19, 3, v0
	s_lshl_b64 s[2:3], s[2:3], 3
	s_load_b32 s0, s[0:1], 0x10
	s_wait_kmcnt 0x0
	s_add_nc_u64 s[4:5], s[4:5], s[2:3]
	s_clause 0x7
	global_load_b64 v[15:16], v19, s[4:5]
	global_load_b64 v[13:14], v19, s[4:5] offset:2048
	global_load_b64 v[11:12], v19, s[4:5] offset:4096
	;; [unrolled: 1-line block ×7, first 2 shown]
	s_cmp_eq_u32 s0, 0
	s_cbranch_scc1 .LBB87_5
; %bb.1:
	v_cmp_ne_u32_e32 vcc_lo, 0xff, v0
	s_branch .LBB87_3
.LBB87_2:                               ;   in Loop: Header=BB87_3 Depth=1
	s_or_b32 exec_lo, exec_lo, s1
	v_add_f64_e64 v[20:21], v[15:16], -v[13:14]
	v_add_f64_e64 v[22:23], v[13:14], -v[11:12]
	;; [unrolled: 1-line block ×7, first 2 shown]
	v_add_f64_e32 v[1:2], v[1:2], v[17:18]
	s_add_co_i32 s0, s0, -1
	s_wait_loadcnt 0x0
	s_cmp_lg_u32 s0, 0
	s_barrier_signal -1
	s_barrier_wait -1
	global_inv scope:SCOPE_SE
	v_add_f64_e32 v[15:16], v[15:16], v[20:21]
	v_add_f64_e32 v[13:14], v[13:14], v[22:23]
	;; [unrolled: 1-line block ×7, first 2 shown]
	s_cbranch_scc0 .LBB87_5
.LBB87_3:                               ; =>This Inner Loop Header: Depth=1
	s_wait_loadcnt 0x0
	v_dual_mov_b32 v18, v2 :: v_dual_mov_b32 v17, v1
	ds_store_b64 v19, v[15:16] offset:2048
	s_wait_dscnt 0x0
	s_barrier_signal -1
	s_barrier_wait -1
	global_inv scope:SCOPE_SE
	s_and_saveexec_b32 s1, vcc_lo
	s_cbranch_execz .LBB87_2
; %bb.4:                                ;   in Loop: Header=BB87_3 Depth=1
	ds_load_b64 v[17:18], v19 offset:2056
	s_wait_dscnt 0x0
	v_add_f64_e64 v[17:18], v[1:2], -v[17:18]
	s_branch .LBB87_2
.LBB87_5:
	s_add_nc_u64 s[0:1], s[6:7], s[2:3]
	s_wait_loadcnt 0x7
	global_store_b64 v19, v[15:16], s[0:1]
	s_wait_loadcnt 0x6
	global_store_b64 v19, v[13:14], s[0:1] offset:2048
	s_wait_loadcnt 0x5
	global_store_b64 v19, v[11:12], s[0:1] offset:4096
	;; [unrolled: 2-line block ×7, first 2 shown]
	s_endpgm
	.section	.rodata,"a",@progbits
	.p2align	6, 0x0
	.amdhsa_kernel _Z6kernelI14subtract_rightLj256ELj8ELb0EJPdS1_jEEvDpT3_
		.amdhsa_group_segment_fixed_size 4096
		.amdhsa_private_segment_fixed_size 0
		.amdhsa_kernarg_size 20
		.amdhsa_user_sgpr_count 2
		.amdhsa_user_sgpr_dispatch_ptr 0
		.amdhsa_user_sgpr_queue_ptr 0
		.amdhsa_user_sgpr_kernarg_segment_ptr 1
		.amdhsa_user_sgpr_dispatch_id 0
		.amdhsa_user_sgpr_private_segment_size 0
		.amdhsa_wavefront_size32 1
		.amdhsa_uses_dynamic_stack 0
		.amdhsa_enable_private_segment 0
		.amdhsa_system_sgpr_workgroup_id_x 1
		.amdhsa_system_sgpr_workgroup_id_y 0
		.amdhsa_system_sgpr_workgroup_id_z 0
		.amdhsa_system_sgpr_workgroup_info 0
		.amdhsa_system_vgpr_workitem_id 0
		.amdhsa_next_free_vgpr 34
		.amdhsa_next_free_sgpr 8
		.amdhsa_reserve_vcc 1
		.amdhsa_float_round_mode_32 0
		.amdhsa_float_round_mode_16_64 0
		.amdhsa_float_denorm_mode_32 3
		.amdhsa_float_denorm_mode_16_64 3
		.amdhsa_fp16_overflow 0
		.amdhsa_workgroup_processor_mode 1
		.amdhsa_memory_ordered 1
		.amdhsa_forward_progress 1
		.amdhsa_inst_pref_size 4
		.amdhsa_round_robin_scheduling 0
		.amdhsa_exception_fp_ieee_invalid_op 0
		.amdhsa_exception_fp_denorm_src 0
		.amdhsa_exception_fp_ieee_div_zero 0
		.amdhsa_exception_fp_ieee_overflow 0
		.amdhsa_exception_fp_ieee_underflow 0
		.amdhsa_exception_fp_ieee_inexact 0
		.amdhsa_exception_int_div_zero 0
	.end_amdhsa_kernel
	.section	.text._Z6kernelI14subtract_rightLj256ELj8ELb0EJPdS1_jEEvDpT3_,"axG",@progbits,_Z6kernelI14subtract_rightLj256ELj8ELb0EJPdS1_jEEvDpT3_,comdat
.Lfunc_end87:
	.size	_Z6kernelI14subtract_rightLj256ELj8ELb0EJPdS1_jEEvDpT3_, .Lfunc_end87-_Z6kernelI14subtract_rightLj256ELj8ELb0EJPdS1_jEEvDpT3_
                                        ; -- End function
	.set _Z6kernelI14subtract_rightLj256ELj8ELb0EJPdS1_jEEvDpT3_.num_vgpr, 34
	.set _Z6kernelI14subtract_rightLj256ELj8ELb0EJPdS1_jEEvDpT3_.num_agpr, 0
	.set _Z6kernelI14subtract_rightLj256ELj8ELb0EJPdS1_jEEvDpT3_.numbered_sgpr, 8
	.set _Z6kernelI14subtract_rightLj256ELj8ELb0EJPdS1_jEEvDpT3_.num_named_barrier, 0
	.set _Z6kernelI14subtract_rightLj256ELj8ELb0EJPdS1_jEEvDpT3_.private_seg_size, 0
	.set _Z6kernelI14subtract_rightLj256ELj8ELb0EJPdS1_jEEvDpT3_.uses_vcc, 1
	.set _Z6kernelI14subtract_rightLj256ELj8ELb0EJPdS1_jEEvDpT3_.uses_flat_scratch, 0
	.set _Z6kernelI14subtract_rightLj256ELj8ELb0EJPdS1_jEEvDpT3_.has_dyn_sized_stack, 0
	.set _Z6kernelI14subtract_rightLj256ELj8ELb0EJPdS1_jEEvDpT3_.has_recursion, 0
	.set _Z6kernelI14subtract_rightLj256ELj8ELb0EJPdS1_jEEvDpT3_.has_indirect_call, 0
	.section	.AMDGPU.csdata,"",@progbits
; Kernel info:
; codeLenInByte = 500
; TotalNumSgprs: 10
; NumVgprs: 34
; ScratchSize: 0
; MemoryBound: 0
; FloatMode: 240
; IeeeMode: 1
; LDSByteSize: 4096 bytes/workgroup (compile time only)
; SGPRBlocks: 0
; VGPRBlocks: 4
; NumSGPRsForWavesPerEU: 10
; NumVGPRsForWavesPerEU: 34
; Occupancy: 16
; WaveLimiterHint : 1
; COMPUTE_PGM_RSRC2:SCRATCH_EN: 0
; COMPUTE_PGM_RSRC2:USER_SGPR: 2
; COMPUTE_PGM_RSRC2:TRAP_HANDLER: 0
; COMPUTE_PGM_RSRC2:TGID_X_EN: 1
; COMPUTE_PGM_RSRC2:TGID_Y_EN: 0
; COMPUTE_PGM_RSRC2:TGID_Z_EN: 0
; COMPUTE_PGM_RSRC2:TIDIG_COMP_CNT: 0
	.section	.text._Z6kernelI14subtract_rightLj256ELj16ELb0EJPdS1_jEEvDpT3_,"axG",@progbits,_Z6kernelI14subtract_rightLj256ELj16ELb0EJPdS1_jEEvDpT3_,comdat
	.protected	_Z6kernelI14subtract_rightLj256ELj16ELb0EJPdS1_jEEvDpT3_ ; -- Begin function _Z6kernelI14subtract_rightLj256ELj16ELb0EJPdS1_jEEvDpT3_
	.globl	_Z6kernelI14subtract_rightLj256ELj16ELb0EJPdS1_jEEvDpT3_
	.p2align	8
	.type	_Z6kernelI14subtract_rightLj256ELj16ELb0EJPdS1_jEEvDpT3_,@function
_Z6kernelI14subtract_rightLj256ELj16ELb0EJPdS1_jEEvDpT3_: ; @_Z6kernelI14subtract_rightLj256ELj16ELb0EJPdS1_jEEvDpT3_
; %bb.0:
	s_load_b128 s[4:7], s[0:1], 0x0
	s_lshl_b32 s2, ttmp9, 12
	s_mov_b32 s3, 0
	v_lshlrev_b32_e32 v35, 3, v0
	s_lshl_b64 s[2:3], s[2:3], 3
	s_load_b32 s0, s[0:1], 0x10
	s_wait_kmcnt 0x0
	s_add_nc_u64 s[4:5], s[4:5], s[2:3]
	s_clause 0xf
	global_load_b64 v[31:32], v35, s[4:5]
	global_load_b64 v[29:30], v35, s[4:5] offset:2048
	global_load_b64 v[27:28], v35, s[4:5] offset:4096
	;; [unrolled: 1-line block ×15, first 2 shown]
	s_cmp_eq_u32 s0, 0
	s_cbranch_scc1 .LBB88_5
; %bb.1:
	v_cmp_ne_u32_e32 vcc_lo, 0xff, v0
	s_branch .LBB88_3
.LBB88_2:                               ;   in Loop: Header=BB88_3 Depth=1
	s_or_b32 exec_lo, exec_lo, s1
	v_add_f64_e64 v[36:37], v[31:32], -v[29:30]
	v_add_f64_e64 v[38:39], v[29:30], -v[27:28]
	;; [unrolled: 1-line block ×15, first 2 shown]
	v_add_f64_e32 v[1:2], v[1:2], v[33:34]
	s_add_co_i32 s0, s0, -1
	s_wait_loadcnt 0x0
	s_cmp_lg_u32 s0, 0
	s_barrier_signal -1
	s_barrier_wait -1
	global_inv scope:SCOPE_SE
	v_add_f64_e32 v[31:32], v[31:32], v[36:37]
	v_add_f64_e32 v[29:30], v[29:30], v[38:39]
	;; [unrolled: 1-line block ×15, first 2 shown]
	s_cbranch_scc0 .LBB88_5
.LBB88_3:                               ; =>This Inner Loop Header: Depth=1
	s_wait_loadcnt 0x0
	v_dual_mov_b32 v34, v2 :: v_dual_mov_b32 v33, v1
	ds_store_b64 v35, v[31:32] offset:2048
	s_wait_dscnt 0x0
	s_barrier_signal -1
	s_barrier_wait -1
	global_inv scope:SCOPE_SE
	s_and_saveexec_b32 s1, vcc_lo
	s_cbranch_execz .LBB88_2
; %bb.4:                                ;   in Loop: Header=BB88_3 Depth=1
	ds_load_b64 v[33:34], v35 offset:2056
	s_wait_dscnt 0x0
	v_add_f64_e64 v[33:34], v[1:2], -v[33:34]
	s_branch .LBB88_2
.LBB88_5:
	s_add_nc_u64 s[0:1], s[6:7], s[2:3]
	s_wait_loadcnt 0xf
	global_store_b64 v35, v[31:32], s[0:1]
	s_wait_loadcnt 0xe
	global_store_b64 v35, v[29:30], s[0:1] offset:2048
	s_wait_loadcnt 0xd
	global_store_b64 v35, v[27:28], s[0:1] offset:4096
	;; [unrolled: 2-line block ×15, first 2 shown]
	s_endpgm
	.section	.rodata,"a",@progbits
	.p2align	6, 0x0
	.amdhsa_kernel _Z6kernelI14subtract_rightLj256ELj16ELb0EJPdS1_jEEvDpT3_
		.amdhsa_group_segment_fixed_size 4096
		.amdhsa_private_segment_fixed_size 0
		.amdhsa_kernarg_size 20
		.amdhsa_user_sgpr_count 2
		.amdhsa_user_sgpr_dispatch_ptr 0
		.amdhsa_user_sgpr_queue_ptr 0
		.amdhsa_user_sgpr_kernarg_segment_ptr 1
		.amdhsa_user_sgpr_dispatch_id 0
		.amdhsa_user_sgpr_private_segment_size 0
		.amdhsa_wavefront_size32 1
		.amdhsa_uses_dynamic_stack 0
		.amdhsa_enable_private_segment 0
		.amdhsa_system_sgpr_workgroup_id_x 1
		.amdhsa_system_sgpr_workgroup_id_y 0
		.amdhsa_system_sgpr_workgroup_id_z 0
		.amdhsa_system_sgpr_workgroup_info 0
		.amdhsa_system_vgpr_workitem_id 0
		.amdhsa_next_free_vgpr 66
		.amdhsa_next_free_sgpr 8
		.amdhsa_reserve_vcc 1
		.amdhsa_float_round_mode_32 0
		.amdhsa_float_round_mode_16_64 0
		.amdhsa_float_denorm_mode_32 3
		.amdhsa_float_denorm_mode_16_64 3
		.amdhsa_fp16_overflow 0
		.amdhsa_workgroup_processor_mode 1
		.amdhsa_memory_ordered 1
		.amdhsa_forward_progress 1
		.amdhsa_inst_pref_size 7
		.amdhsa_round_robin_scheduling 0
		.amdhsa_exception_fp_ieee_invalid_op 0
		.amdhsa_exception_fp_denorm_src 0
		.amdhsa_exception_fp_ieee_div_zero 0
		.amdhsa_exception_fp_ieee_overflow 0
		.amdhsa_exception_fp_ieee_underflow 0
		.amdhsa_exception_fp_ieee_inexact 0
		.amdhsa_exception_int_div_zero 0
	.end_amdhsa_kernel
	.section	.text._Z6kernelI14subtract_rightLj256ELj16ELb0EJPdS1_jEEvDpT3_,"axG",@progbits,_Z6kernelI14subtract_rightLj256ELj16ELb0EJPdS1_jEEvDpT3_,comdat
.Lfunc_end88:
	.size	_Z6kernelI14subtract_rightLj256ELj16ELb0EJPdS1_jEEvDpT3_, .Lfunc_end88-_Z6kernelI14subtract_rightLj256ELj16ELb0EJPdS1_jEEvDpT3_
                                        ; -- End function
	.set _Z6kernelI14subtract_rightLj256ELj16ELb0EJPdS1_jEEvDpT3_.num_vgpr, 66
	.set _Z6kernelI14subtract_rightLj256ELj16ELb0EJPdS1_jEEvDpT3_.num_agpr, 0
	.set _Z6kernelI14subtract_rightLj256ELj16ELb0EJPdS1_jEEvDpT3_.numbered_sgpr, 8
	.set _Z6kernelI14subtract_rightLj256ELj16ELb0EJPdS1_jEEvDpT3_.num_named_barrier, 0
	.set _Z6kernelI14subtract_rightLj256ELj16ELb0EJPdS1_jEEvDpT3_.private_seg_size, 0
	.set _Z6kernelI14subtract_rightLj256ELj16ELb0EJPdS1_jEEvDpT3_.uses_vcc, 1
	.set _Z6kernelI14subtract_rightLj256ELj16ELb0EJPdS1_jEEvDpT3_.uses_flat_scratch, 0
	.set _Z6kernelI14subtract_rightLj256ELj16ELb0EJPdS1_jEEvDpT3_.has_dyn_sized_stack, 0
	.set _Z6kernelI14subtract_rightLj256ELj16ELb0EJPdS1_jEEvDpT3_.has_recursion, 0
	.set _Z6kernelI14subtract_rightLj256ELj16ELb0EJPdS1_jEEvDpT3_.has_indirect_call, 0
	.section	.AMDGPU.csdata,"",@progbits
; Kernel info:
; codeLenInByte = 820
; TotalNumSgprs: 10
; NumVgprs: 66
; ScratchSize: 0
; MemoryBound: 0
; FloatMode: 240
; IeeeMode: 1
; LDSByteSize: 4096 bytes/workgroup (compile time only)
; SGPRBlocks: 0
; VGPRBlocks: 8
; NumSGPRsForWavesPerEU: 10
; NumVGPRsForWavesPerEU: 66
; Occupancy: 16
; WaveLimiterHint : 1
; COMPUTE_PGM_RSRC2:SCRATCH_EN: 0
; COMPUTE_PGM_RSRC2:USER_SGPR: 2
; COMPUTE_PGM_RSRC2:TRAP_HANDLER: 0
; COMPUTE_PGM_RSRC2:TGID_X_EN: 1
; COMPUTE_PGM_RSRC2:TGID_Y_EN: 0
; COMPUTE_PGM_RSRC2:TGID_Z_EN: 0
; COMPUTE_PGM_RSRC2:TIDIG_COMP_CNT: 0
	.section	.text._Z6kernelI14subtract_rightLj256ELj32ELb0EJPdS1_jEEvDpT3_,"axG",@progbits,_Z6kernelI14subtract_rightLj256ELj32ELb0EJPdS1_jEEvDpT3_,comdat
	.protected	_Z6kernelI14subtract_rightLj256ELj32ELb0EJPdS1_jEEvDpT3_ ; -- Begin function _Z6kernelI14subtract_rightLj256ELj32ELb0EJPdS1_jEEvDpT3_
	.globl	_Z6kernelI14subtract_rightLj256ELj32ELb0EJPdS1_jEEvDpT3_
	.p2align	8
	.type	_Z6kernelI14subtract_rightLj256ELj32ELb0EJPdS1_jEEvDpT3_,@function
_Z6kernelI14subtract_rightLj256ELj32ELb0EJPdS1_jEEvDpT3_: ; @_Z6kernelI14subtract_rightLj256ELj32ELb0EJPdS1_jEEvDpT3_
; %bb.0:
	s_load_b128 s[4:7], s[0:1], 0x0
	s_lshl_b32 s2, ttmp9, 13
	s_mov_b32 s3, 0
	v_lshlrev_b32_e32 v67, 3, v0
	s_lshl_b64 s[2:3], s[2:3], 3
	s_load_b32 s0, s[0:1], 0x10
	s_wait_kmcnt 0x0
	s_add_nc_u64 s[4:5], s[4:5], s[2:3]
	s_clause 0x1f
	global_load_b64 v[63:64], v67, s[4:5]
	global_load_b64 v[61:62], v67, s[4:5] offset:2048
	global_load_b64 v[59:60], v67, s[4:5] offset:4096
	;; [unrolled: 1-line block ×31, first 2 shown]
	s_cmp_eq_u32 s0, 0
	s_cbranch_scc1 .LBB89_5
; %bb.1:
	v_cmp_ne_u32_e32 vcc_lo, 0xff, v0
	s_branch .LBB89_3
.LBB89_2:                               ;   in Loop: Header=BB89_3 Depth=1
	s_or_b32 exec_lo, exec_lo, s1
	v_add_f64_e64 v[68:69], v[63:64], -v[61:62]
	v_add_f64_e64 v[70:71], v[61:62], -v[59:60]
	;; [unrolled: 1-line block ×13, first 2 shown]
	s_add_co_i32 s0, s0, -1
	s_wait_loadcnt 0x0
	s_cmp_lg_u32 s0, 0
	s_barrier_signal -1
	s_barrier_wait -1
	global_inv scope:SCOPE_SE
	v_add_f64_e32 v[63:64], v[63:64], v[68:69]
	v_add_f64_e64 v[68:69], v[37:38], -v[35:36]
	v_add_f64_e32 v[61:62], v[61:62], v[70:71]
	v_add_f64_e64 v[70:71], v[35:36], -v[33:34]
	;; [unrolled: 2-line block ×18, first 2 shown]
	v_add_f64_e32 v[27:28], v[27:28], v[78:79]
	v_add_f64_e32 v[1:2], v[1:2], v[65:66]
	;; [unrolled: 1-line block ×14, first 2 shown]
	s_cbranch_scc0 .LBB89_5
.LBB89_3:                               ; =>This Inner Loop Header: Depth=1
	s_wait_loadcnt 0x0
	v_dual_mov_b32 v66, v2 :: v_dual_mov_b32 v65, v1
	ds_store_b64 v67, v[63:64] offset:2048
	s_wait_dscnt 0x0
	s_barrier_signal -1
	s_barrier_wait -1
	global_inv scope:SCOPE_SE
	s_and_saveexec_b32 s1, vcc_lo
	s_cbranch_execz .LBB89_2
; %bb.4:                                ;   in Loop: Header=BB89_3 Depth=1
	ds_load_b64 v[65:66], v67 offset:2056
	s_wait_dscnt 0x0
	v_add_f64_e64 v[65:66], v[1:2], -v[65:66]
	s_branch .LBB89_2
.LBB89_5:
	s_add_nc_u64 s[0:1], s[6:7], s[2:3]
	s_wait_loadcnt 0x1f
	global_store_b64 v67, v[63:64], s[0:1]
	s_wait_loadcnt 0x1e
	global_store_b64 v67, v[61:62], s[0:1] offset:2048
	s_wait_loadcnt 0x1d
	global_store_b64 v67, v[59:60], s[0:1] offset:4096
	;; [unrolled: 2-line block ×31, first 2 shown]
	s_endpgm
	.section	.rodata,"a",@progbits
	.p2align	6, 0x0
	.amdhsa_kernel _Z6kernelI14subtract_rightLj256ELj32ELb0EJPdS1_jEEvDpT3_
		.amdhsa_group_segment_fixed_size 4096
		.amdhsa_private_segment_fixed_size 0
		.amdhsa_kernarg_size 20
		.amdhsa_user_sgpr_count 2
		.amdhsa_user_sgpr_dispatch_ptr 0
		.amdhsa_user_sgpr_queue_ptr 0
		.amdhsa_user_sgpr_kernarg_segment_ptr 1
		.amdhsa_user_sgpr_dispatch_id 0
		.amdhsa_user_sgpr_private_segment_size 0
		.amdhsa_wavefront_size32 1
		.amdhsa_uses_dynamic_stack 0
		.amdhsa_enable_private_segment 0
		.amdhsa_system_sgpr_workgroup_id_x 1
		.amdhsa_system_sgpr_workgroup_id_y 0
		.amdhsa_system_sgpr_workgroup_id_z 0
		.amdhsa_system_sgpr_workgroup_info 0
		.amdhsa_system_vgpr_workitem_id 0
		.amdhsa_next_free_vgpr 94
		.amdhsa_next_free_sgpr 8
		.amdhsa_reserve_vcc 1
		.amdhsa_float_round_mode_32 0
		.amdhsa_float_round_mode_16_64 0
		.amdhsa_float_denorm_mode_32 3
		.amdhsa_float_denorm_mode_16_64 3
		.amdhsa_fp16_overflow 0
		.amdhsa_workgroup_processor_mode 1
		.amdhsa_memory_ordered 1
		.amdhsa_forward_progress 1
		.amdhsa_inst_pref_size 12
		.amdhsa_round_robin_scheduling 0
		.amdhsa_exception_fp_ieee_invalid_op 0
		.amdhsa_exception_fp_denorm_src 0
		.amdhsa_exception_fp_ieee_div_zero 0
		.amdhsa_exception_fp_ieee_overflow 0
		.amdhsa_exception_fp_ieee_underflow 0
		.amdhsa_exception_fp_ieee_inexact 0
		.amdhsa_exception_int_div_zero 0
	.end_amdhsa_kernel
	.section	.text._Z6kernelI14subtract_rightLj256ELj32ELb0EJPdS1_jEEvDpT3_,"axG",@progbits,_Z6kernelI14subtract_rightLj256ELj32ELb0EJPdS1_jEEvDpT3_,comdat
.Lfunc_end89:
	.size	_Z6kernelI14subtract_rightLj256ELj32ELb0EJPdS1_jEEvDpT3_, .Lfunc_end89-_Z6kernelI14subtract_rightLj256ELj32ELb0EJPdS1_jEEvDpT3_
                                        ; -- End function
	.set _Z6kernelI14subtract_rightLj256ELj32ELb0EJPdS1_jEEvDpT3_.num_vgpr, 94
	.set _Z6kernelI14subtract_rightLj256ELj32ELb0EJPdS1_jEEvDpT3_.num_agpr, 0
	.set _Z6kernelI14subtract_rightLj256ELj32ELb0EJPdS1_jEEvDpT3_.numbered_sgpr, 8
	.set _Z6kernelI14subtract_rightLj256ELj32ELb0EJPdS1_jEEvDpT3_.num_named_barrier, 0
	.set _Z6kernelI14subtract_rightLj256ELj32ELb0EJPdS1_jEEvDpT3_.private_seg_size, 0
	.set _Z6kernelI14subtract_rightLj256ELj32ELb0EJPdS1_jEEvDpT3_.uses_vcc, 1
	.set _Z6kernelI14subtract_rightLj256ELj32ELb0EJPdS1_jEEvDpT3_.uses_flat_scratch, 0
	.set _Z6kernelI14subtract_rightLj256ELj32ELb0EJPdS1_jEEvDpT3_.has_dyn_sized_stack, 0
	.set _Z6kernelI14subtract_rightLj256ELj32ELb0EJPdS1_jEEvDpT3_.has_recursion, 0
	.set _Z6kernelI14subtract_rightLj256ELj32ELb0EJPdS1_jEEvDpT3_.has_indirect_call, 0
	.section	.AMDGPU.csdata,"",@progbits
; Kernel info:
; codeLenInByte = 1460
; TotalNumSgprs: 10
; NumVgprs: 94
; ScratchSize: 0
; MemoryBound: 0
; FloatMode: 240
; IeeeMode: 1
; LDSByteSize: 4096 bytes/workgroup (compile time only)
; SGPRBlocks: 0
; VGPRBlocks: 11
; NumSGPRsForWavesPerEU: 10
; NumVGPRsForWavesPerEU: 94
; Occupancy: 16
; WaveLimiterHint : 1
; COMPUTE_PGM_RSRC2:SCRATCH_EN: 0
; COMPUTE_PGM_RSRC2:USER_SGPR: 2
; COMPUTE_PGM_RSRC2:TRAP_HANDLER: 0
; COMPUTE_PGM_RSRC2:TGID_X_EN: 1
; COMPUTE_PGM_RSRC2:TGID_Y_EN: 0
; COMPUTE_PGM_RSRC2:TGID_Z_EN: 0
; COMPUTE_PGM_RSRC2:TIDIG_COMP_CNT: 0
	.section	.text._Z6kernelI14subtract_rightLj256ELj1ELb1EJPiS1_jEEvDpT3_,"axG",@progbits,_Z6kernelI14subtract_rightLj256ELj1ELb1EJPiS1_jEEvDpT3_,comdat
	.protected	_Z6kernelI14subtract_rightLj256ELj1ELb1EJPiS1_jEEvDpT3_ ; -- Begin function _Z6kernelI14subtract_rightLj256ELj1ELb1EJPiS1_jEEvDpT3_
	.globl	_Z6kernelI14subtract_rightLj256ELj1ELb1EJPiS1_jEEvDpT3_
	.p2align	8
	.type	_Z6kernelI14subtract_rightLj256ELj1ELb1EJPiS1_jEEvDpT3_,@function
_Z6kernelI14subtract_rightLj256ELj1ELb1EJPiS1_jEEvDpT3_: ; @_Z6kernelI14subtract_rightLj256ELj1ELb1EJPiS1_jEEvDpT3_
; %bb.0:
	s_load_b128 s[4:7], s[0:1], 0x0
	s_lshl_b32 s2, ttmp9, 8
	s_mov_b32 s3, 0
	v_lshlrev_b32_e32 v1, 2, v0
	s_lshl_b64 s[2:3], s[2:3], 2
	s_load_b32 s0, s[0:1], 0x10
	s_wait_kmcnt 0x0
	s_add_nc_u64 s[4:5], s[4:5], s[2:3]
	global_load_b32 v2, v1, s[4:5]
	s_cmp_eq_u32 s0, 0
	s_cbranch_scc1 .LBB90_5
; %bb.1:
	v_cmp_ne_u32_e32 vcc_lo, 0xff, v0
	s_branch .LBB90_3
.LBB90_2:                               ;   in Loop: Header=BB90_3 Depth=1
	s_or_b32 exec_lo, exec_lo, s1
	v_lshlrev_b32_e32 v2, 1, v2
	s_add_co_i32 s0, s0, -1
	s_wait_loadcnt_dscnt 0x0
	s_cmp_lg_u32 s0, 0
	s_barrier_signal -1
	v_sub_nc_u32_e32 v2, v2, v0
	s_barrier_wait -1
	global_inv scope:SCOPE_SE
	s_cbranch_scc0 .LBB90_5
.LBB90_3:                               ; =>This Inner Loop Header: Depth=1
	v_mov_b32_e32 v0, 0x7b
	s_wait_loadcnt 0x0
	ds_store_b32 v1, v2 offset:1024
	s_wait_dscnt 0x0
	s_barrier_signal -1
	s_barrier_wait -1
	global_inv scope:SCOPE_SE
	s_and_saveexec_b32 s1, vcc_lo
	s_cbranch_execz .LBB90_2
; %bb.4:                                ;   in Loop: Header=BB90_3 Depth=1
	ds_load_b32 v0, v1 offset:1028
	s_branch .LBB90_2
.LBB90_5:
	s_add_nc_u64 s[0:1], s[6:7], s[2:3]
	s_wait_loadcnt 0x0
	global_store_b32 v1, v2, s[0:1]
	s_endpgm
	.section	.rodata,"a",@progbits
	.p2align	6, 0x0
	.amdhsa_kernel _Z6kernelI14subtract_rightLj256ELj1ELb1EJPiS1_jEEvDpT3_
		.amdhsa_group_segment_fixed_size 2048
		.amdhsa_private_segment_fixed_size 0
		.amdhsa_kernarg_size 20
		.amdhsa_user_sgpr_count 2
		.amdhsa_user_sgpr_dispatch_ptr 0
		.amdhsa_user_sgpr_queue_ptr 0
		.amdhsa_user_sgpr_kernarg_segment_ptr 1
		.amdhsa_user_sgpr_dispatch_id 0
		.amdhsa_user_sgpr_private_segment_size 0
		.amdhsa_wavefront_size32 1
		.amdhsa_uses_dynamic_stack 0
		.amdhsa_enable_private_segment 0
		.amdhsa_system_sgpr_workgroup_id_x 1
		.amdhsa_system_sgpr_workgroup_id_y 0
		.amdhsa_system_sgpr_workgroup_id_z 0
		.amdhsa_system_sgpr_workgroup_info 0
		.amdhsa_system_vgpr_workitem_id 0
		.amdhsa_next_free_vgpr 3
		.amdhsa_next_free_sgpr 8
		.amdhsa_reserve_vcc 1
		.amdhsa_float_round_mode_32 0
		.amdhsa_float_round_mode_16_64 0
		.amdhsa_float_denorm_mode_32 3
		.amdhsa_float_denorm_mode_16_64 3
		.amdhsa_fp16_overflow 0
		.amdhsa_workgroup_processor_mode 1
		.amdhsa_memory_ordered 1
		.amdhsa_forward_progress 1
		.amdhsa_inst_pref_size 2
		.amdhsa_round_robin_scheduling 0
		.amdhsa_exception_fp_ieee_invalid_op 0
		.amdhsa_exception_fp_denorm_src 0
		.amdhsa_exception_fp_ieee_div_zero 0
		.amdhsa_exception_fp_ieee_overflow 0
		.amdhsa_exception_fp_ieee_underflow 0
		.amdhsa_exception_fp_ieee_inexact 0
		.amdhsa_exception_int_div_zero 0
	.end_amdhsa_kernel
	.section	.text._Z6kernelI14subtract_rightLj256ELj1ELb1EJPiS1_jEEvDpT3_,"axG",@progbits,_Z6kernelI14subtract_rightLj256ELj1ELb1EJPiS1_jEEvDpT3_,comdat
.Lfunc_end90:
	.size	_Z6kernelI14subtract_rightLj256ELj1ELb1EJPiS1_jEEvDpT3_, .Lfunc_end90-_Z6kernelI14subtract_rightLj256ELj1ELb1EJPiS1_jEEvDpT3_
                                        ; -- End function
	.set _Z6kernelI14subtract_rightLj256ELj1ELb1EJPiS1_jEEvDpT3_.num_vgpr, 3
	.set _Z6kernelI14subtract_rightLj256ELj1ELb1EJPiS1_jEEvDpT3_.num_agpr, 0
	.set _Z6kernelI14subtract_rightLj256ELj1ELb1EJPiS1_jEEvDpT3_.numbered_sgpr, 8
	.set _Z6kernelI14subtract_rightLj256ELj1ELb1EJPiS1_jEEvDpT3_.num_named_barrier, 0
	.set _Z6kernelI14subtract_rightLj256ELj1ELb1EJPiS1_jEEvDpT3_.private_seg_size, 0
	.set _Z6kernelI14subtract_rightLj256ELj1ELb1EJPiS1_jEEvDpT3_.uses_vcc, 1
	.set _Z6kernelI14subtract_rightLj256ELj1ELb1EJPiS1_jEEvDpT3_.uses_flat_scratch, 0
	.set _Z6kernelI14subtract_rightLj256ELj1ELb1EJPiS1_jEEvDpT3_.has_dyn_sized_stack, 0
	.set _Z6kernelI14subtract_rightLj256ELj1ELb1EJPiS1_jEEvDpT3_.has_recursion, 0
	.set _Z6kernelI14subtract_rightLj256ELj1ELb1EJPiS1_jEEvDpT3_.has_indirect_call, 0
	.section	.AMDGPU.csdata,"",@progbits
; Kernel info:
; codeLenInByte = 208
; TotalNumSgprs: 10
; NumVgprs: 3
; ScratchSize: 0
; MemoryBound: 0
; FloatMode: 240
; IeeeMode: 1
; LDSByteSize: 2048 bytes/workgroup (compile time only)
; SGPRBlocks: 0
; VGPRBlocks: 0
; NumSGPRsForWavesPerEU: 10
; NumVGPRsForWavesPerEU: 3
; Occupancy: 16
; WaveLimiterHint : 0
; COMPUTE_PGM_RSRC2:SCRATCH_EN: 0
; COMPUTE_PGM_RSRC2:USER_SGPR: 2
; COMPUTE_PGM_RSRC2:TRAP_HANDLER: 0
; COMPUTE_PGM_RSRC2:TGID_X_EN: 1
; COMPUTE_PGM_RSRC2:TGID_Y_EN: 0
; COMPUTE_PGM_RSRC2:TGID_Z_EN: 0
; COMPUTE_PGM_RSRC2:TIDIG_COMP_CNT: 0
	.section	.text._Z6kernelI14subtract_rightLj256ELj3ELb1EJPiS1_jEEvDpT3_,"axG",@progbits,_Z6kernelI14subtract_rightLj256ELj3ELb1EJPiS1_jEEvDpT3_,comdat
	.protected	_Z6kernelI14subtract_rightLj256ELj3ELb1EJPiS1_jEEvDpT3_ ; -- Begin function _Z6kernelI14subtract_rightLj256ELj3ELb1EJPiS1_jEEvDpT3_
	.globl	_Z6kernelI14subtract_rightLj256ELj3ELb1EJPiS1_jEEvDpT3_
	.p2align	8
	.type	_Z6kernelI14subtract_rightLj256ELj3ELb1EJPiS1_jEEvDpT3_,@function
_Z6kernelI14subtract_rightLj256ELj3ELb1EJPiS1_jEEvDpT3_: ; @_Z6kernelI14subtract_rightLj256ELj3ELb1EJPiS1_jEEvDpT3_
; %bb.0:
	s_load_b128 s[4:7], s[0:1], 0x0
	s_mul_i32 s2, ttmp9, 0x300
	s_mov_b32 s3, 0
	v_lshlrev_b32_e32 v1, 2, v0
	s_lshl_b64 s[2:3], s[2:3], 2
	s_load_b32 s0, s[0:1], 0x10
	s_wait_kmcnt 0x0
	s_add_nc_u64 s[4:5], s[4:5], s[2:3]
	s_clause 0x2
	global_load_b32 v4, v1, s[4:5]
	global_load_b32 v3, v1, s[4:5] offset:1024
	global_load_b32 v2, v1, s[4:5] offset:2048
	s_cmp_eq_u32 s0, 0
	s_cbranch_scc1 .LBB91_5
; %bb.1:
	v_cmp_ne_u32_e32 vcc_lo, 0xff, v0
	s_branch .LBB91_3
.LBB91_2:                               ;   in Loop: Header=BB91_3 Depth=1
	s_or_b32 exec_lo, exec_lo, s1
	v_lshlrev_b32_e32 v4, 1, v4
	v_lshlrev_b32_e32 v5, 1, v3
	;; [unrolled: 1-line block ×3, first 2 shown]
	s_add_co_i32 s0, s0, -1
	s_wait_loadcnt_dscnt 0x0
	v_sub_nc_u32_e32 v4, v4, v3
	v_sub_nc_u32_e32 v3, v5, v2
	;; [unrolled: 1-line block ×3, first 2 shown]
	s_cmp_lg_u32 s0, 0
	s_barrier_signal -1
	s_barrier_wait -1
	global_inv scope:SCOPE_SE
	s_cbranch_scc0 .LBB91_5
.LBB91_3:                               ; =>This Inner Loop Header: Depth=1
	v_mov_b32_e32 v0, 0x7b
	s_wait_loadcnt 0x2
	ds_store_b32 v1, v4 offset:1024
	s_wait_loadcnt_dscnt 0x0
	s_barrier_signal -1
	s_barrier_wait -1
	global_inv scope:SCOPE_SE
	s_and_saveexec_b32 s1, vcc_lo
	s_cbranch_execz .LBB91_2
; %bb.4:                                ;   in Loop: Header=BB91_3 Depth=1
	ds_load_b32 v0, v1 offset:1028
	s_branch .LBB91_2
.LBB91_5:
	s_add_nc_u64 s[0:1], s[6:7], s[2:3]
	s_wait_loadcnt 0x2
	global_store_b32 v1, v4, s[0:1]
	s_wait_loadcnt 0x1
	global_store_b32 v1, v3, s[0:1] offset:1024
	s_wait_loadcnt 0x0
	global_store_b32 v1, v2, s[0:1] offset:2048
	s_endpgm
	.section	.rodata,"a",@progbits
	.p2align	6, 0x0
	.amdhsa_kernel _Z6kernelI14subtract_rightLj256ELj3ELb1EJPiS1_jEEvDpT3_
		.amdhsa_group_segment_fixed_size 2048
		.amdhsa_private_segment_fixed_size 0
		.amdhsa_kernarg_size 20
		.amdhsa_user_sgpr_count 2
		.amdhsa_user_sgpr_dispatch_ptr 0
		.amdhsa_user_sgpr_queue_ptr 0
		.amdhsa_user_sgpr_kernarg_segment_ptr 1
		.amdhsa_user_sgpr_dispatch_id 0
		.amdhsa_user_sgpr_private_segment_size 0
		.amdhsa_wavefront_size32 1
		.amdhsa_uses_dynamic_stack 0
		.amdhsa_enable_private_segment 0
		.amdhsa_system_sgpr_workgroup_id_x 1
		.amdhsa_system_sgpr_workgroup_id_y 0
		.amdhsa_system_sgpr_workgroup_id_z 0
		.amdhsa_system_sgpr_workgroup_info 0
		.amdhsa_system_vgpr_workitem_id 0
		.amdhsa_next_free_vgpr 7
		.amdhsa_next_free_sgpr 8
		.amdhsa_reserve_vcc 1
		.amdhsa_float_round_mode_32 0
		.amdhsa_float_round_mode_16_64 0
		.amdhsa_float_denorm_mode_32 3
		.amdhsa_float_denorm_mode_16_64 3
		.amdhsa_fp16_overflow 0
		.amdhsa_workgroup_processor_mode 1
		.amdhsa_memory_ordered 1
		.amdhsa_forward_progress 1
		.amdhsa_inst_pref_size 3
		.amdhsa_round_robin_scheduling 0
		.amdhsa_exception_fp_ieee_invalid_op 0
		.amdhsa_exception_fp_denorm_src 0
		.amdhsa_exception_fp_ieee_div_zero 0
		.amdhsa_exception_fp_ieee_overflow 0
		.amdhsa_exception_fp_ieee_underflow 0
		.amdhsa_exception_fp_ieee_inexact 0
		.amdhsa_exception_int_div_zero 0
	.end_amdhsa_kernel
	.section	.text._Z6kernelI14subtract_rightLj256ELj3ELb1EJPiS1_jEEvDpT3_,"axG",@progbits,_Z6kernelI14subtract_rightLj256ELj3ELb1EJPiS1_jEEvDpT3_,comdat
.Lfunc_end91:
	.size	_Z6kernelI14subtract_rightLj256ELj3ELb1EJPiS1_jEEvDpT3_, .Lfunc_end91-_Z6kernelI14subtract_rightLj256ELj3ELb1EJPiS1_jEEvDpT3_
                                        ; -- End function
	.set _Z6kernelI14subtract_rightLj256ELj3ELb1EJPiS1_jEEvDpT3_.num_vgpr, 7
	.set _Z6kernelI14subtract_rightLj256ELj3ELb1EJPiS1_jEEvDpT3_.num_agpr, 0
	.set _Z6kernelI14subtract_rightLj256ELj3ELb1EJPiS1_jEEvDpT3_.numbered_sgpr, 8
	.set _Z6kernelI14subtract_rightLj256ELj3ELb1EJPiS1_jEEvDpT3_.num_named_barrier, 0
	.set _Z6kernelI14subtract_rightLj256ELj3ELb1EJPiS1_jEEvDpT3_.private_seg_size, 0
	.set _Z6kernelI14subtract_rightLj256ELj3ELb1EJPiS1_jEEvDpT3_.uses_vcc, 1
	.set _Z6kernelI14subtract_rightLj256ELj3ELb1EJPiS1_jEEvDpT3_.uses_flat_scratch, 0
	.set _Z6kernelI14subtract_rightLj256ELj3ELb1EJPiS1_jEEvDpT3_.has_dyn_sized_stack, 0
	.set _Z6kernelI14subtract_rightLj256ELj3ELb1EJPiS1_jEEvDpT3_.has_recursion, 0
	.set _Z6kernelI14subtract_rightLj256ELj3ELb1EJPiS1_jEEvDpT3_.has_indirect_call, 0
	.section	.AMDGPU.csdata,"",@progbits
; Kernel info:
; codeLenInByte = 288
; TotalNumSgprs: 10
; NumVgprs: 7
; ScratchSize: 0
; MemoryBound: 0
; FloatMode: 240
; IeeeMode: 1
; LDSByteSize: 2048 bytes/workgroup (compile time only)
; SGPRBlocks: 0
; VGPRBlocks: 0
; NumSGPRsForWavesPerEU: 10
; NumVGPRsForWavesPerEU: 7
; Occupancy: 16
; WaveLimiterHint : 1
; COMPUTE_PGM_RSRC2:SCRATCH_EN: 0
; COMPUTE_PGM_RSRC2:USER_SGPR: 2
; COMPUTE_PGM_RSRC2:TRAP_HANDLER: 0
; COMPUTE_PGM_RSRC2:TGID_X_EN: 1
; COMPUTE_PGM_RSRC2:TGID_Y_EN: 0
; COMPUTE_PGM_RSRC2:TGID_Z_EN: 0
; COMPUTE_PGM_RSRC2:TIDIG_COMP_CNT: 0
	.section	.text._Z6kernelI14subtract_rightLj256ELj4ELb1EJPiS1_jEEvDpT3_,"axG",@progbits,_Z6kernelI14subtract_rightLj256ELj4ELb1EJPiS1_jEEvDpT3_,comdat
	.protected	_Z6kernelI14subtract_rightLj256ELj4ELb1EJPiS1_jEEvDpT3_ ; -- Begin function _Z6kernelI14subtract_rightLj256ELj4ELb1EJPiS1_jEEvDpT3_
	.globl	_Z6kernelI14subtract_rightLj256ELj4ELb1EJPiS1_jEEvDpT3_
	.p2align	8
	.type	_Z6kernelI14subtract_rightLj256ELj4ELb1EJPiS1_jEEvDpT3_,@function
_Z6kernelI14subtract_rightLj256ELj4ELb1EJPiS1_jEEvDpT3_: ; @_Z6kernelI14subtract_rightLj256ELj4ELb1EJPiS1_jEEvDpT3_
; %bb.0:
	s_load_b128 s[4:7], s[0:1], 0x0
	s_lshl_b32 s2, ttmp9, 10
	s_mov_b32 s3, 0
	v_lshlrev_b32_e32 v1, 2, v0
	s_lshl_b64 s[2:3], s[2:3], 2
	s_load_b32 s0, s[0:1], 0x10
	s_wait_kmcnt 0x0
	s_add_nc_u64 s[4:5], s[4:5], s[2:3]
	s_clause 0x3
	global_load_b32 v5, v1, s[4:5]
	global_load_b32 v4, v1, s[4:5] offset:1024
	global_load_b32 v3, v1, s[4:5] offset:2048
	;; [unrolled: 1-line block ×3, first 2 shown]
	s_cmp_eq_u32 s0, 0
	s_cbranch_scc1 .LBB92_5
; %bb.1:
	v_cmp_ne_u32_e32 vcc_lo, 0xff, v0
	s_branch .LBB92_3
.LBB92_2:                               ;   in Loop: Header=BB92_3 Depth=1
	s_or_b32 exec_lo, exec_lo, s1
	v_lshlrev_b32_e32 v5, 1, v5
	v_lshlrev_b32_e32 v6, 1, v4
	;; [unrolled: 1-line block ×4, first 2 shown]
	s_add_co_i32 s0, s0, -1
	v_sub_nc_u32_e32 v5, v5, v4
	v_sub_nc_u32_e32 v4, v6, v3
	;; [unrolled: 1-line block ×3, first 2 shown]
	s_wait_dscnt 0x0
	v_sub_nc_u32_e32 v2, v8, v0
	s_cmp_lg_u32 s0, 0
	s_wait_loadcnt 0x0
	s_barrier_signal -1
	s_barrier_wait -1
	global_inv scope:SCOPE_SE
	s_cbranch_scc0 .LBB92_5
.LBB92_3:                               ; =>This Inner Loop Header: Depth=1
	v_mov_b32_e32 v0, 0x7b
	s_wait_loadcnt 0x3
	ds_store_b32 v1, v5 offset:1024
	s_wait_loadcnt_dscnt 0x0
	s_barrier_signal -1
	s_barrier_wait -1
	global_inv scope:SCOPE_SE
	s_and_saveexec_b32 s1, vcc_lo
	s_cbranch_execz .LBB92_2
; %bb.4:                                ;   in Loop: Header=BB92_3 Depth=1
	ds_load_b32 v0, v1 offset:1028
	s_branch .LBB92_2
.LBB92_5:
	s_add_nc_u64 s[0:1], s[6:7], s[2:3]
	s_wait_loadcnt 0x3
	global_store_b32 v1, v5, s[0:1]
	s_wait_loadcnt 0x2
	global_store_b32 v1, v4, s[0:1] offset:1024
	s_wait_loadcnt 0x1
	global_store_b32 v1, v3, s[0:1] offset:2048
	;; [unrolled: 2-line block ×3, first 2 shown]
	s_endpgm
	.section	.rodata,"a",@progbits
	.p2align	6, 0x0
	.amdhsa_kernel _Z6kernelI14subtract_rightLj256ELj4ELb1EJPiS1_jEEvDpT3_
		.amdhsa_group_segment_fixed_size 2048
		.amdhsa_private_segment_fixed_size 0
		.amdhsa_kernarg_size 20
		.amdhsa_user_sgpr_count 2
		.amdhsa_user_sgpr_dispatch_ptr 0
		.amdhsa_user_sgpr_queue_ptr 0
		.amdhsa_user_sgpr_kernarg_segment_ptr 1
		.amdhsa_user_sgpr_dispatch_id 0
		.amdhsa_user_sgpr_private_segment_size 0
		.amdhsa_wavefront_size32 1
		.amdhsa_uses_dynamic_stack 0
		.amdhsa_enable_private_segment 0
		.amdhsa_system_sgpr_workgroup_id_x 1
		.amdhsa_system_sgpr_workgroup_id_y 0
		.amdhsa_system_sgpr_workgroup_id_z 0
		.amdhsa_system_sgpr_workgroup_info 0
		.amdhsa_system_vgpr_workitem_id 0
		.amdhsa_next_free_vgpr 9
		.amdhsa_next_free_sgpr 8
		.amdhsa_reserve_vcc 1
		.amdhsa_float_round_mode_32 0
		.amdhsa_float_round_mode_16_64 0
		.amdhsa_float_denorm_mode_32 3
		.amdhsa_float_denorm_mode_16_64 3
		.amdhsa_fp16_overflow 0
		.amdhsa_workgroup_processor_mode 1
		.amdhsa_memory_ordered 1
		.amdhsa_forward_progress 1
		.amdhsa_inst_pref_size 3
		.amdhsa_round_robin_scheduling 0
		.amdhsa_exception_fp_ieee_invalid_op 0
		.amdhsa_exception_fp_denorm_src 0
		.amdhsa_exception_fp_ieee_div_zero 0
		.amdhsa_exception_fp_ieee_overflow 0
		.amdhsa_exception_fp_ieee_underflow 0
		.amdhsa_exception_fp_ieee_inexact 0
		.amdhsa_exception_int_div_zero 0
	.end_amdhsa_kernel
	.section	.text._Z6kernelI14subtract_rightLj256ELj4ELb1EJPiS1_jEEvDpT3_,"axG",@progbits,_Z6kernelI14subtract_rightLj256ELj4ELb1EJPiS1_jEEvDpT3_,comdat
.Lfunc_end92:
	.size	_Z6kernelI14subtract_rightLj256ELj4ELb1EJPiS1_jEEvDpT3_, .Lfunc_end92-_Z6kernelI14subtract_rightLj256ELj4ELb1EJPiS1_jEEvDpT3_
                                        ; -- End function
	.set _Z6kernelI14subtract_rightLj256ELj4ELb1EJPiS1_jEEvDpT3_.num_vgpr, 9
	.set _Z6kernelI14subtract_rightLj256ELj4ELb1EJPiS1_jEEvDpT3_.num_agpr, 0
	.set _Z6kernelI14subtract_rightLj256ELj4ELb1EJPiS1_jEEvDpT3_.numbered_sgpr, 8
	.set _Z6kernelI14subtract_rightLj256ELj4ELb1EJPiS1_jEEvDpT3_.num_named_barrier, 0
	.set _Z6kernelI14subtract_rightLj256ELj4ELb1EJPiS1_jEEvDpT3_.private_seg_size, 0
	.set _Z6kernelI14subtract_rightLj256ELj4ELb1EJPiS1_jEEvDpT3_.uses_vcc, 1
	.set _Z6kernelI14subtract_rightLj256ELj4ELb1EJPiS1_jEEvDpT3_.uses_flat_scratch, 0
	.set _Z6kernelI14subtract_rightLj256ELj4ELb1EJPiS1_jEEvDpT3_.has_dyn_sized_stack, 0
	.set _Z6kernelI14subtract_rightLj256ELj4ELb1EJPiS1_jEEvDpT3_.has_recursion, 0
	.set _Z6kernelI14subtract_rightLj256ELj4ELb1EJPiS1_jEEvDpT3_.has_indirect_call, 0
	.section	.AMDGPU.csdata,"",@progbits
; Kernel info:
; codeLenInByte = 324
; TotalNumSgprs: 10
; NumVgprs: 9
; ScratchSize: 0
; MemoryBound: 0
; FloatMode: 240
; IeeeMode: 1
; LDSByteSize: 2048 bytes/workgroup (compile time only)
; SGPRBlocks: 0
; VGPRBlocks: 1
; NumSGPRsForWavesPerEU: 10
; NumVGPRsForWavesPerEU: 9
; Occupancy: 16
; WaveLimiterHint : 1
; COMPUTE_PGM_RSRC2:SCRATCH_EN: 0
; COMPUTE_PGM_RSRC2:USER_SGPR: 2
; COMPUTE_PGM_RSRC2:TRAP_HANDLER: 0
; COMPUTE_PGM_RSRC2:TGID_X_EN: 1
; COMPUTE_PGM_RSRC2:TGID_Y_EN: 0
; COMPUTE_PGM_RSRC2:TGID_Z_EN: 0
; COMPUTE_PGM_RSRC2:TIDIG_COMP_CNT: 0
	.section	.text._Z6kernelI14subtract_rightLj256ELj8ELb1EJPiS1_jEEvDpT3_,"axG",@progbits,_Z6kernelI14subtract_rightLj256ELj8ELb1EJPiS1_jEEvDpT3_,comdat
	.protected	_Z6kernelI14subtract_rightLj256ELj8ELb1EJPiS1_jEEvDpT3_ ; -- Begin function _Z6kernelI14subtract_rightLj256ELj8ELb1EJPiS1_jEEvDpT3_
	.globl	_Z6kernelI14subtract_rightLj256ELj8ELb1EJPiS1_jEEvDpT3_
	.p2align	8
	.type	_Z6kernelI14subtract_rightLj256ELj8ELb1EJPiS1_jEEvDpT3_,@function
_Z6kernelI14subtract_rightLj256ELj8ELb1EJPiS1_jEEvDpT3_: ; @_Z6kernelI14subtract_rightLj256ELj8ELb1EJPiS1_jEEvDpT3_
; %bb.0:
	s_load_b128 s[4:7], s[0:1], 0x0
	s_lshl_b32 s2, ttmp9, 11
	s_mov_b32 s3, 0
	v_lshlrev_b32_e32 v1, 2, v0
	s_lshl_b64 s[2:3], s[2:3], 2
	s_load_b32 s0, s[0:1], 0x10
	s_wait_kmcnt 0x0
	s_add_nc_u64 s[4:5], s[4:5], s[2:3]
	s_clause 0x7
	global_load_b32 v8, v1, s[4:5]
	global_load_b32 v7, v1, s[4:5] offset:1024
	global_load_b32 v6, v1, s[4:5] offset:2048
	global_load_b32 v9, v1, s[4:5] offset:3072
	global_load_b32 v5, v1, s[4:5] offset:4096
	global_load_b32 v4, v1, s[4:5] offset:5120
	global_load_b32 v3, v1, s[4:5] offset:6144
	global_load_b32 v2, v1, s[4:5] offset:7168
	s_cmp_eq_u32 s0, 0
	s_cbranch_scc1 .LBB93_5
; %bb.1:
	v_cmp_ne_u32_e32 vcc_lo, 0xff, v0
	s_branch .LBB93_3
.LBB93_2:                               ;   in Loop: Header=BB93_3 Depth=1
	s_or_b32 exec_lo, exec_lo, s1
	v_lshlrev_b32_e32 v8, 1, v8
	v_lshlrev_b32_e32 v10, 1, v7
	;; [unrolled: 1-line block ×5, first 2 shown]
	v_sub_nc_u32_e32 v8, v8, v7
	v_sub_nc_u32_e32 v7, v10, v6
	;; [unrolled: 1-line block ×3, first 2 shown]
	v_lshlrev_b32_e32 v9, 1, v9
	v_lshlrev_b32_e32 v10, 1, v5
	;; [unrolled: 1-line block ×3, first 2 shown]
	s_add_co_i32 s0, s0, -1
	s_wait_loadcnt_dscnt 0x0
	v_sub_nc_u32_e32 v9, v9, v5
	v_sub_nc_u32_e32 v5, v10, v4
	;; [unrolled: 1-line block ×5, first 2 shown]
	s_cmp_lg_u32 s0, 0
	s_barrier_signal -1
	s_barrier_wait -1
	global_inv scope:SCOPE_SE
	s_cbranch_scc0 .LBB93_5
.LBB93_3:                               ; =>This Inner Loop Header: Depth=1
	v_mov_b32_e32 v0, 0x7b
	s_wait_loadcnt 0x7
	ds_store_b32 v1, v8 offset:1024
	s_wait_loadcnt_dscnt 0x0
	s_barrier_signal -1
	s_barrier_wait -1
	global_inv scope:SCOPE_SE
	s_and_saveexec_b32 s1, vcc_lo
	s_cbranch_execz .LBB93_2
; %bb.4:                                ;   in Loop: Header=BB93_3 Depth=1
	ds_load_b32 v0, v1 offset:1028
	s_branch .LBB93_2
.LBB93_5:
	s_add_nc_u64 s[0:1], s[6:7], s[2:3]
	s_wait_loadcnt 0x7
	global_store_b32 v1, v8, s[0:1]
	s_wait_loadcnt 0x6
	global_store_b32 v1, v7, s[0:1] offset:1024
	s_wait_loadcnt 0x5
	global_store_b32 v1, v6, s[0:1] offset:2048
	;; [unrolled: 2-line block ×7, first 2 shown]
	s_endpgm
	.section	.rodata,"a",@progbits
	.p2align	6, 0x0
	.amdhsa_kernel _Z6kernelI14subtract_rightLj256ELj8ELb1EJPiS1_jEEvDpT3_
		.amdhsa_group_segment_fixed_size 2048
		.amdhsa_private_segment_fixed_size 0
		.amdhsa_kernarg_size 20
		.amdhsa_user_sgpr_count 2
		.amdhsa_user_sgpr_dispatch_ptr 0
		.amdhsa_user_sgpr_queue_ptr 0
		.amdhsa_user_sgpr_kernarg_segment_ptr 1
		.amdhsa_user_sgpr_dispatch_id 0
		.amdhsa_user_sgpr_private_segment_size 0
		.amdhsa_wavefront_size32 1
		.amdhsa_uses_dynamic_stack 0
		.amdhsa_enable_private_segment 0
		.amdhsa_system_sgpr_workgroup_id_x 1
		.amdhsa_system_sgpr_workgroup_id_y 0
		.amdhsa_system_sgpr_workgroup_id_z 0
		.amdhsa_system_sgpr_workgroup_info 0
		.amdhsa_system_vgpr_workitem_id 0
		.amdhsa_next_free_vgpr 14
		.amdhsa_next_free_sgpr 8
		.amdhsa_reserve_vcc 1
		.amdhsa_float_round_mode_32 0
		.amdhsa_float_round_mode_16_64 0
		.amdhsa_float_denorm_mode_32 3
		.amdhsa_float_denorm_mode_16_64 3
		.amdhsa_fp16_overflow 0
		.amdhsa_workgroup_processor_mode 1
		.amdhsa_memory_ordered 1
		.amdhsa_forward_progress 1
		.amdhsa_inst_pref_size 4
		.amdhsa_round_robin_scheduling 0
		.amdhsa_exception_fp_ieee_invalid_op 0
		.amdhsa_exception_fp_denorm_src 0
		.amdhsa_exception_fp_ieee_div_zero 0
		.amdhsa_exception_fp_ieee_overflow 0
		.amdhsa_exception_fp_ieee_underflow 0
		.amdhsa_exception_fp_ieee_inexact 0
		.amdhsa_exception_int_div_zero 0
	.end_amdhsa_kernel
	.section	.text._Z6kernelI14subtract_rightLj256ELj8ELb1EJPiS1_jEEvDpT3_,"axG",@progbits,_Z6kernelI14subtract_rightLj256ELj8ELb1EJPiS1_jEEvDpT3_,comdat
.Lfunc_end93:
	.size	_Z6kernelI14subtract_rightLj256ELj8ELb1EJPiS1_jEEvDpT3_, .Lfunc_end93-_Z6kernelI14subtract_rightLj256ELj8ELb1EJPiS1_jEEvDpT3_
                                        ; -- End function
	.set _Z6kernelI14subtract_rightLj256ELj8ELb1EJPiS1_jEEvDpT3_.num_vgpr, 14
	.set _Z6kernelI14subtract_rightLj256ELj8ELb1EJPiS1_jEEvDpT3_.num_agpr, 0
	.set _Z6kernelI14subtract_rightLj256ELj8ELb1EJPiS1_jEEvDpT3_.numbered_sgpr, 8
	.set _Z6kernelI14subtract_rightLj256ELj8ELb1EJPiS1_jEEvDpT3_.num_named_barrier, 0
	.set _Z6kernelI14subtract_rightLj256ELj8ELb1EJPiS1_jEEvDpT3_.private_seg_size, 0
	.set _Z6kernelI14subtract_rightLj256ELj8ELb1EJPiS1_jEEvDpT3_.uses_vcc, 1
	.set _Z6kernelI14subtract_rightLj256ELj8ELb1EJPiS1_jEEvDpT3_.uses_flat_scratch, 0
	.set _Z6kernelI14subtract_rightLj256ELj8ELb1EJPiS1_jEEvDpT3_.has_dyn_sized_stack, 0
	.set _Z6kernelI14subtract_rightLj256ELj8ELb1EJPiS1_jEEvDpT3_.has_recursion, 0
	.set _Z6kernelI14subtract_rightLj256ELj8ELb1EJPiS1_jEEvDpT3_.has_indirect_call, 0
	.section	.AMDGPU.csdata,"",@progbits
; Kernel info:
; codeLenInByte = 464
; TotalNumSgprs: 10
; NumVgprs: 14
; ScratchSize: 0
; MemoryBound: 0
; FloatMode: 240
; IeeeMode: 1
; LDSByteSize: 2048 bytes/workgroup (compile time only)
; SGPRBlocks: 0
; VGPRBlocks: 1
; NumSGPRsForWavesPerEU: 10
; NumVGPRsForWavesPerEU: 14
; Occupancy: 16
; WaveLimiterHint : 1
; COMPUTE_PGM_RSRC2:SCRATCH_EN: 0
; COMPUTE_PGM_RSRC2:USER_SGPR: 2
; COMPUTE_PGM_RSRC2:TRAP_HANDLER: 0
; COMPUTE_PGM_RSRC2:TGID_X_EN: 1
; COMPUTE_PGM_RSRC2:TGID_Y_EN: 0
; COMPUTE_PGM_RSRC2:TGID_Z_EN: 0
; COMPUTE_PGM_RSRC2:TIDIG_COMP_CNT: 0
	.section	.text._Z6kernelI14subtract_rightLj256ELj16ELb1EJPiS1_jEEvDpT3_,"axG",@progbits,_Z6kernelI14subtract_rightLj256ELj16ELb1EJPiS1_jEEvDpT3_,comdat
	.protected	_Z6kernelI14subtract_rightLj256ELj16ELb1EJPiS1_jEEvDpT3_ ; -- Begin function _Z6kernelI14subtract_rightLj256ELj16ELb1EJPiS1_jEEvDpT3_
	.globl	_Z6kernelI14subtract_rightLj256ELj16ELb1EJPiS1_jEEvDpT3_
	.p2align	8
	.type	_Z6kernelI14subtract_rightLj256ELj16ELb1EJPiS1_jEEvDpT3_,@function
_Z6kernelI14subtract_rightLj256ELj16ELb1EJPiS1_jEEvDpT3_: ; @_Z6kernelI14subtract_rightLj256ELj16ELb1EJPiS1_jEEvDpT3_
; %bb.0:
	s_load_b128 s[4:7], s[0:1], 0x0
	s_lshl_b32 s2, ttmp9, 12
	s_mov_b32 s3, 0
	v_lshlrev_b32_e32 v1, 2, v0
	s_lshl_b64 s[2:3], s[2:3], 2
	s_load_b32 s0, s[0:1], 0x10
	s_wait_kmcnt 0x0
	s_add_nc_u64 s[4:5], s[4:5], s[2:3]
	s_clause 0xf
	global_load_b32 v17, v1, s[4:5]
	global_load_b32 v16, v1, s[4:5] offset:1024
	global_load_b32 v15, v1, s[4:5] offset:2048
	;; [unrolled: 1-line block ×15, first 2 shown]
	s_cmp_eq_u32 s0, 0
	s_cbranch_scc1 .LBB94_5
; %bb.1:
	v_cmp_ne_u32_e32 vcc_lo, 0xff, v0
	s_branch .LBB94_3
.LBB94_2:                               ;   in Loop: Header=BB94_3 Depth=1
	s_or_b32 exec_lo, exec_lo, s1
	v_sub_nc_u32_e32 v18, v17, v16
	v_sub_nc_u32_e32 v19, v16, v15
	;; [unrolled: 1-line block ×15, first 2 shown]
	s_wait_dscnt 0x0
	v_sub_nc_u32_e32 v0, v2, v0
	v_add_nc_u32_e32 v17, v18, v17
	v_add_nc_u32_e32 v16, v19, v16
	;; [unrolled: 1-line block ×16, first 2 shown]
	s_add_co_i32 s0, s0, -1
	s_wait_loadcnt 0x0
	s_cmp_lg_u32 s0, 0
	s_barrier_signal -1
	s_barrier_wait -1
	global_inv scope:SCOPE_SE
	s_cbranch_scc0 .LBB94_5
.LBB94_3:                               ; =>This Inner Loop Header: Depth=1
	v_mov_b32_e32 v0, 0x7b
	s_wait_loadcnt 0xf
	ds_store_b32 v1, v17 offset:1024
	s_wait_loadcnt_dscnt 0x0
	s_barrier_signal -1
	s_barrier_wait -1
	global_inv scope:SCOPE_SE
	s_and_saveexec_b32 s1, vcc_lo
	s_cbranch_execz .LBB94_2
; %bb.4:                                ;   in Loop: Header=BB94_3 Depth=1
	ds_load_b32 v0, v1 offset:1028
	s_branch .LBB94_2
.LBB94_5:
	s_add_nc_u64 s[0:1], s[6:7], s[2:3]
	s_wait_loadcnt 0xf
	global_store_b32 v1, v17, s[0:1]
	s_wait_loadcnt 0xe
	global_store_b32 v1, v16, s[0:1] offset:1024
	s_wait_loadcnt 0xd
	global_store_b32 v1, v15, s[0:1] offset:2048
	;; [unrolled: 2-line block ×15, first 2 shown]
	s_endpgm
	.section	.rodata,"a",@progbits
	.p2align	6, 0x0
	.amdhsa_kernel _Z6kernelI14subtract_rightLj256ELj16ELb1EJPiS1_jEEvDpT3_
		.amdhsa_group_segment_fixed_size 2048
		.amdhsa_private_segment_fixed_size 0
		.amdhsa_kernarg_size 20
		.amdhsa_user_sgpr_count 2
		.amdhsa_user_sgpr_dispatch_ptr 0
		.amdhsa_user_sgpr_queue_ptr 0
		.amdhsa_user_sgpr_kernarg_segment_ptr 1
		.amdhsa_user_sgpr_dispatch_id 0
		.amdhsa_user_sgpr_private_segment_size 0
		.amdhsa_wavefront_size32 1
		.amdhsa_uses_dynamic_stack 0
		.amdhsa_enable_private_segment 0
		.amdhsa_system_sgpr_workgroup_id_x 1
		.amdhsa_system_sgpr_workgroup_id_y 0
		.amdhsa_system_sgpr_workgroup_id_z 0
		.amdhsa_system_sgpr_workgroup_info 0
		.amdhsa_system_vgpr_workitem_id 0
		.amdhsa_next_free_vgpr 33
		.amdhsa_next_free_sgpr 8
		.amdhsa_reserve_vcc 1
		.amdhsa_float_round_mode_32 0
		.amdhsa_float_round_mode_16_64 0
		.amdhsa_float_denorm_mode_32 3
		.amdhsa_float_denorm_mode_16_64 3
		.amdhsa_fp16_overflow 0
		.amdhsa_workgroup_processor_mode 1
		.amdhsa_memory_ordered 1
		.amdhsa_forward_progress 1
		.amdhsa_inst_pref_size 6
		.amdhsa_round_robin_scheduling 0
		.amdhsa_exception_fp_ieee_invalid_op 0
		.amdhsa_exception_fp_denorm_src 0
		.amdhsa_exception_fp_ieee_div_zero 0
		.amdhsa_exception_fp_ieee_overflow 0
		.amdhsa_exception_fp_ieee_underflow 0
		.amdhsa_exception_fp_ieee_inexact 0
		.amdhsa_exception_int_div_zero 0
	.end_amdhsa_kernel
	.section	.text._Z6kernelI14subtract_rightLj256ELj16ELb1EJPiS1_jEEvDpT3_,"axG",@progbits,_Z6kernelI14subtract_rightLj256ELj16ELb1EJPiS1_jEEvDpT3_,comdat
.Lfunc_end94:
	.size	_Z6kernelI14subtract_rightLj256ELj16ELb1EJPiS1_jEEvDpT3_, .Lfunc_end94-_Z6kernelI14subtract_rightLj256ELj16ELb1EJPiS1_jEEvDpT3_
                                        ; -- End function
	.set _Z6kernelI14subtract_rightLj256ELj16ELb1EJPiS1_jEEvDpT3_.num_vgpr, 33
	.set _Z6kernelI14subtract_rightLj256ELj16ELb1EJPiS1_jEEvDpT3_.num_agpr, 0
	.set _Z6kernelI14subtract_rightLj256ELj16ELb1EJPiS1_jEEvDpT3_.numbered_sgpr, 8
	.set _Z6kernelI14subtract_rightLj256ELj16ELb1EJPiS1_jEEvDpT3_.num_named_barrier, 0
	.set _Z6kernelI14subtract_rightLj256ELj16ELb1EJPiS1_jEEvDpT3_.private_seg_size, 0
	.set _Z6kernelI14subtract_rightLj256ELj16ELb1EJPiS1_jEEvDpT3_.uses_vcc, 1
	.set _Z6kernelI14subtract_rightLj256ELj16ELb1EJPiS1_jEEvDpT3_.uses_flat_scratch, 0
	.set _Z6kernelI14subtract_rightLj256ELj16ELb1EJPiS1_jEEvDpT3_.has_dyn_sized_stack, 0
	.set _Z6kernelI14subtract_rightLj256ELj16ELb1EJPiS1_jEEvDpT3_.has_recursion, 0
	.set _Z6kernelI14subtract_rightLj256ELj16ELb1EJPiS1_jEEvDpT3_.has_indirect_call, 0
	.section	.AMDGPU.csdata,"",@progbits
; Kernel info:
; codeLenInByte = 756
; TotalNumSgprs: 10
; NumVgprs: 33
; ScratchSize: 0
; MemoryBound: 0
; FloatMode: 240
; IeeeMode: 1
; LDSByteSize: 2048 bytes/workgroup (compile time only)
; SGPRBlocks: 0
; VGPRBlocks: 4
; NumSGPRsForWavesPerEU: 10
; NumVGPRsForWavesPerEU: 33
; Occupancy: 16
; WaveLimiterHint : 1
; COMPUTE_PGM_RSRC2:SCRATCH_EN: 0
; COMPUTE_PGM_RSRC2:USER_SGPR: 2
; COMPUTE_PGM_RSRC2:TRAP_HANDLER: 0
; COMPUTE_PGM_RSRC2:TGID_X_EN: 1
; COMPUTE_PGM_RSRC2:TGID_Y_EN: 0
; COMPUTE_PGM_RSRC2:TGID_Z_EN: 0
; COMPUTE_PGM_RSRC2:TIDIG_COMP_CNT: 0
	.section	.text._Z6kernelI14subtract_rightLj256ELj32ELb1EJPiS1_jEEvDpT3_,"axG",@progbits,_Z6kernelI14subtract_rightLj256ELj32ELb1EJPiS1_jEEvDpT3_,comdat
	.protected	_Z6kernelI14subtract_rightLj256ELj32ELb1EJPiS1_jEEvDpT3_ ; -- Begin function _Z6kernelI14subtract_rightLj256ELj32ELb1EJPiS1_jEEvDpT3_
	.globl	_Z6kernelI14subtract_rightLj256ELj32ELb1EJPiS1_jEEvDpT3_
	.p2align	8
	.type	_Z6kernelI14subtract_rightLj256ELj32ELb1EJPiS1_jEEvDpT3_,@function
_Z6kernelI14subtract_rightLj256ELj32ELb1EJPiS1_jEEvDpT3_: ; @_Z6kernelI14subtract_rightLj256ELj32ELb1EJPiS1_jEEvDpT3_
; %bb.0:
	s_load_b128 s[4:7], s[0:1], 0x0
	s_lshl_b32 s2, ttmp9, 13
	s_mov_b32 s3, 0
	v_lshlrev_b32_e32 v1, 2, v0
	s_lshl_b64 s[2:3], s[2:3], 2
	s_load_b32 s0, s[0:1], 0x10
	s_wait_kmcnt 0x0
	s_add_nc_u64 s[4:5], s[4:5], s[2:3]
	s_clause 0x1f
	global_load_b32 v33, v1, s[4:5]
	global_load_b32 v32, v1, s[4:5] offset:1024
	global_load_b32 v31, v1, s[4:5] offset:2048
	global_load_b32 v30, v1, s[4:5] offset:3072
	global_load_b32 v29, v1, s[4:5] offset:4096
	global_load_b32 v28, v1, s[4:5] offset:5120
	global_load_b32 v27, v1, s[4:5] offset:6144
	global_load_b32 v26, v1, s[4:5] offset:7168
	global_load_b32 v25, v1, s[4:5] offset:8192
	global_load_b32 v24, v1, s[4:5] offset:9216
	global_load_b32 v23, v1, s[4:5] offset:10240
	global_load_b32 v22, v1, s[4:5] offset:11264
	global_load_b32 v21, v1, s[4:5] offset:12288
	global_load_b32 v20, v1, s[4:5] offset:13312
	global_load_b32 v19, v1, s[4:5] offset:14336
	global_load_b32 v18, v1, s[4:5] offset:15360
	global_load_b32 v17, v1, s[4:5] offset:16384
	global_load_b32 v16, v1, s[4:5] offset:17408
	global_load_b32 v15, v1, s[4:5] offset:18432
	global_load_b32 v14, v1, s[4:5] offset:19456
	global_load_b32 v13, v1, s[4:5] offset:20480
	global_load_b32 v12, v1, s[4:5] offset:21504
	global_load_b32 v11, v1, s[4:5] offset:22528
	global_load_b32 v10, v1, s[4:5] offset:23552
	global_load_b32 v9, v1, s[4:5] offset:24576
	global_load_b32 v8, v1, s[4:5] offset:25600
	global_load_b32 v7, v1, s[4:5] offset:26624
	global_load_b32 v6, v1, s[4:5] offset:27648
	global_load_b32 v5, v1, s[4:5] offset:28672
	global_load_b32 v4, v1, s[4:5] offset:29696
	global_load_b32 v3, v1, s[4:5] offset:30720
	global_load_b32 v2, v1, s[4:5] offset:31744
	s_cmp_eq_u32 s0, 0
	s_cbranch_scc1 .LBB95_5
; %bb.1:
	v_cmp_ne_u32_e32 vcc_lo, 0xff, v0
	s_branch .LBB95_3
.LBB95_2:                               ;   in Loop: Header=BB95_3 Depth=1
	s_or_b32 exec_lo, exec_lo, s1
	v_sub_nc_u32_e32 v34, v33, v32
	v_sub_nc_u32_e32 v35, v32, v31
	;; [unrolled: 1-line block ×31, first 2 shown]
	s_wait_dscnt 0x0
	v_sub_nc_u32_e32 v0, v2, v0
	v_add_nc_u32_e32 v33, v34, v33
	v_add_nc_u32_e32 v32, v35, v32
	;; [unrolled: 1-line block ×32, first 2 shown]
	s_add_co_i32 s0, s0, -1
	s_wait_loadcnt 0x0
	s_cmp_lg_u32 s0, 0
	s_barrier_signal -1
	s_barrier_wait -1
	global_inv scope:SCOPE_SE
	s_cbranch_scc0 .LBB95_5
.LBB95_3:                               ; =>This Inner Loop Header: Depth=1
	v_mov_b32_e32 v0, 0x7b
	s_wait_loadcnt 0x1f
	ds_store_b32 v1, v33 offset:1024
	s_wait_loadcnt_dscnt 0x0
	s_barrier_signal -1
	s_barrier_wait -1
	global_inv scope:SCOPE_SE
	s_and_saveexec_b32 s1, vcc_lo
	s_cbranch_execz .LBB95_2
; %bb.4:                                ;   in Loop: Header=BB95_3 Depth=1
	ds_load_b32 v0, v1 offset:1028
	s_branch .LBB95_2
.LBB95_5:
	s_add_nc_u64 s[0:1], s[6:7], s[2:3]
	s_wait_loadcnt 0x1f
	global_store_b32 v1, v33, s[0:1]
	s_wait_loadcnt 0x1e
	global_store_b32 v1, v32, s[0:1] offset:1024
	s_wait_loadcnt 0x1d
	global_store_b32 v1, v31, s[0:1] offset:2048
	;; [unrolled: 2-line block ×31, first 2 shown]
	s_endpgm
	.section	.rodata,"a",@progbits
	.p2align	6, 0x0
	.amdhsa_kernel _Z6kernelI14subtract_rightLj256ELj32ELb1EJPiS1_jEEvDpT3_
		.amdhsa_group_segment_fixed_size 2048
		.amdhsa_private_segment_fixed_size 0
		.amdhsa_kernarg_size 20
		.amdhsa_user_sgpr_count 2
		.amdhsa_user_sgpr_dispatch_ptr 0
		.amdhsa_user_sgpr_queue_ptr 0
		.amdhsa_user_sgpr_kernarg_segment_ptr 1
		.amdhsa_user_sgpr_dispatch_id 0
		.amdhsa_user_sgpr_private_segment_size 0
		.amdhsa_wavefront_size32 1
		.amdhsa_uses_dynamic_stack 0
		.amdhsa_enable_private_segment 0
		.amdhsa_system_sgpr_workgroup_id_x 1
		.amdhsa_system_sgpr_workgroup_id_y 0
		.amdhsa_system_sgpr_workgroup_id_z 0
		.amdhsa_system_sgpr_workgroup_info 0
		.amdhsa_system_vgpr_workitem_id 0
		.amdhsa_next_free_vgpr 65
		.amdhsa_next_free_sgpr 8
		.amdhsa_reserve_vcc 1
		.amdhsa_float_round_mode_32 0
		.amdhsa_float_round_mode_16_64 0
		.amdhsa_float_denorm_mode_32 3
		.amdhsa_float_denorm_mode_16_64 3
		.amdhsa_fp16_overflow 0
		.amdhsa_workgroup_processor_mode 1
		.amdhsa_memory_ordered 1
		.amdhsa_forward_progress 1
		.amdhsa_inst_pref_size 11
		.amdhsa_round_robin_scheduling 0
		.amdhsa_exception_fp_ieee_invalid_op 0
		.amdhsa_exception_fp_denorm_src 0
		.amdhsa_exception_fp_ieee_div_zero 0
		.amdhsa_exception_fp_ieee_overflow 0
		.amdhsa_exception_fp_ieee_underflow 0
		.amdhsa_exception_fp_ieee_inexact 0
		.amdhsa_exception_int_div_zero 0
	.end_amdhsa_kernel
	.section	.text._Z6kernelI14subtract_rightLj256ELj32ELb1EJPiS1_jEEvDpT3_,"axG",@progbits,_Z6kernelI14subtract_rightLj256ELj32ELb1EJPiS1_jEEvDpT3_,comdat
.Lfunc_end95:
	.size	_Z6kernelI14subtract_rightLj256ELj32ELb1EJPiS1_jEEvDpT3_, .Lfunc_end95-_Z6kernelI14subtract_rightLj256ELj32ELb1EJPiS1_jEEvDpT3_
                                        ; -- End function
	.set _Z6kernelI14subtract_rightLj256ELj32ELb1EJPiS1_jEEvDpT3_.num_vgpr, 65
	.set _Z6kernelI14subtract_rightLj256ELj32ELb1EJPiS1_jEEvDpT3_.num_agpr, 0
	.set _Z6kernelI14subtract_rightLj256ELj32ELb1EJPiS1_jEEvDpT3_.numbered_sgpr, 8
	.set _Z6kernelI14subtract_rightLj256ELj32ELb1EJPiS1_jEEvDpT3_.num_named_barrier, 0
	.set _Z6kernelI14subtract_rightLj256ELj32ELb1EJPiS1_jEEvDpT3_.private_seg_size, 0
	.set _Z6kernelI14subtract_rightLj256ELj32ELb1EJPiS1_jEEvDpT3_.uses_vcc, 1
	.set _Z6kernelI14subtract_rightLj256ELj32ELb1EJPiS1_jEEvDpT3_.uses_flat_scratch, 0
	.set _Z6kernelI14subtract_rightLj256ELj32ELb1EJPiS1_jEEvDpT3_.has_dyn_sized_stack, 0
	.set _Z6kernelI14subtract_rightLj256ELj32ELb1EJPiS1_jEEvDpT3_.has_recursion, 0
	.set _Z6kernelI14subtract_rightLj256ELj32ELb1EJPiS1_jEEvDpT3_.has_indirect_call, 0
	.section	.AMDGPU.csdata,"",@progbits
; Kernel info:
; codeLenInByte = 1332
; TotalNumSgprs: 10
; NumVgprs: 65
; ScratchSize: 0
; MemoryBound: 0
; FloatMode: 240
; IeeeMode: 1
; LDSByteSize: 2048 bytes/workgroup (compile time only)
; SGPRBlocks: 0
; VGPRBlocks: 8
; NumSGPRsForWavesPerEU: 10
; NumVGPRsForWavesPerEU: 65
; Occupancy: 16
; WaveLimiterHint : 1
; COMPUTE_PGM_RSRC2:SCRATCH_EN: 0
; COMPUTE_PGM_RSRC2:USER_SGPR: 2
; COMPUTE_PGM_RSRC2:TRAP_HANDLER: 0
; COMPUTE_PGM_RSRC2:TGID_X_EN: 1
; COMPUTE_PGM_RSRC2:TGID_Y_EN: 0
; COMPUTE_PGM_RSRC2:TGID_Z_EN: 0
; COMPUTE_PGM_RSRC2:TIDIG_COMP_CNT: 0
	.section	.text._Z6kernelI14subtract_rightLj256ELj1ELb1EJPfS1_jEEvDpT3_,"axG",@progbits,_Z6kernelI14subtract_rightLj256ELj1ELb1EJPfS1_jEEvDpT3_,comdat
	.protected	_Z6kernelI14subtract_rightLj256ELj1ELb1EJPfS1_jEEvDpT3_ ; -- Begin function _Z6kernelI14subtract_rightLj256ELj1ELb1EJPfS1_jEEvDpT3_
	.globl	_Z6kernelI14subtract_rightLj256ELj1ELb1EJPfS1_jEEvDpT3_
	.p2align	8
	.type	_Z6kernelI14subtract_rightLj256ELj1ELb1EJPfS1_jEEvDpT3_,@function
_Z6kernelI14subtract_rightLj256ELj1ELb1EJPfS1_jEEvDpT3_: ; @_Z6kernelI14subtract_rightLj256ELj1ELb1EJPfS1_jEEvDpT3_
; %bb.0:
	s_load_b128 s[4:7], s[0:1], 0x0
	s_lshl_b32 s2, ttmp9, 8
	s_mov_b32 s3, 0
	v_lshlrev_b32_e32 v1, 2, v0
	s_lshl_b64 s[2:3], s[2:3], 2
	s_load_b32 s0, s[0:1], 0x10
	s_wait_kmcnt 0x0
	s_add_nc_u64 s[4:5], s[4:5], s[2:3]
	global_load_b32 v2, v1, s[4:5]
	s_cmp_eq_u32 s0, 0
	s_cbranch_scc1 .LBB96_5
; %bb.1:
	v_cmp_ne_u32_e32 vcc_lo, 0xff, v0
	s_branch .LBB96_3
.LBB96_2:                               ;   in Loop: Header=BB96_3 Depth=1
	s_or_b32 exec_lo, exec_lo, s1
	s_wait_dscnt 0x0
	v_sub_f32_e32 v0, v2, v0
	s_add_co_i32 s0, s0, -1
	s_wait_loadcnt 0x0
	s_cmp_lg_u32 s0, 0
	s_barrier_signal -1
	v_add_f32_e32 v2, v2, v0
	s_barrier_wait -1
	global_inv scope:SCOPE_SE
	s_cbranch_scc0 .LBB96_5
.LBB96_3:                               ; =>This Inner Loop Header: Depth=1
	v_mov_b32_e32 v0, 0x42f60000
	s_wait_loadcnt 0x0
	ds_store_b32 v1, v2 offset:1024
	s_wait_dscnt 0x0
	s_barrier_signal -1
	s_barrier_wait -1
	global_inv scope:SCOPE_SE
	s_and_saveexec_b32 s1, vcc_lo
	s_cbranch_execz .LBB96_2
; %bb.4:                                ;   in Loop: Header=BB96_3 Depth=1
	ds_load_b32 v0, v1 offset:1028
	s_branch .LBB96_2
.LBB96_5:
	s_add_nc_u64 s[0:1], s[6:7], s[2:3]
	s_wait_loadcnt 0x0
	global_store_b32 v1, v2, s[0:1]
	s_endpgm
	.section	.rodata,"a",@progbits
	.p2align	6, 0x0
	.amdhsa_kernel _Z6kernelI14subtract_rightLj256ELj1ELb1EJPfS1_jEEvDpT3_
		.amdhsa_group_segment_fixed_size 2048
		.amdhsa_private_segment_fixed_size 0
		.amdhsa_kernarg_size 20
		.amdhsa_user_sgpr_count 2
		.amdhsa_user_sgpr_dispatch_ptr 0
		.amdhsa_user_sgpr_queue_ptr 0
		.amdhsa_user_sgpr_kernarg_segment_ptr 1
		.amdhsa_user_sgpr_dispatch_id 0
		.amdhsa_user_sgpr_private_segment_size 0
		.amdhsa_wavefront_size32 1
		.amdhsa_uses_dynamic_stack 0
		.amdhsa_enable_private_segment 0
		.amdhsa_system_sgpr_workgroup_id_x 1
		.amdhsa_system_sgpr_workgroup_id_y 0
		.amdhsa_system_sgpr_workgroup_id_z 0
		.amdhsa_system_sgpr_workgroup_info 0
		.amdhsa_system_vgpr_workitem_id 0
		.amdhsa_next_free_vgpr 3
		.amdhsa_next_free_sgpr 8
		.amdhsa_reserve_vcc 1
		.amdhsa_float_round_mode_32 0
		.amdhsa_float_round_mode_16_64 0
		.amdhsa_float_denorm_mode_32 3
		.amdhsa_float_denorm_mode_16_64 3
		.amdhsa_fp16_overflow 0
		.amdhsa_workgroup_processor_mode 1
		.amdhsa_memory_ordered 1
		.amdhsa_forward_progress 1
		.amdhsa_inst_pref_size 2
		.amdhsa_round_robin_scheduling 0
		.amdhsa_exception_fp_ieee_invalid_op 0
		.amdhsa_exception_fp_denorm_src 0
		.amdhsa_exception_fp_ieee_div_zero 0
		.amdhsa_exception_fp_ieee_overflow 0
		.amdhsa_exception_fp_ieee_underflow 0
		.amdhsa_exception_fp_ieee_inexact 0
		.amdhsa_exception_int_div_zero 0
	.end_amdhsa_kernel
	.section	.text._Z6kernelI14subtract_rightLj256ELj1ELb1EJPfS1_jEEvDpT3_,"axG",@progbits,_Z6kernelI14subtract_rightLj256ELj1ELb1EJPfS1_jEEvDpT3_,comdat
.Lfunc_end96:
	.size	_Z6kernelI14subtract_rightLj256ELj1ELb1EJPfS1_jEEvDpT3_, .Lfunc_end96-_Z6kernelI14subtract_rightLj256ELj1ELb1EJPfS1_jEEvDpT3_
                                        ; -- End function
	.set _Z6kernelI14subtract_rightLj256ELj1ELb1EJPfS1_jEEvDpT3_.num_vgpr, 3
	.set _Z6kernelI14subtract_rightLj256ELj1ELb1EJPfS1_jEEvDpT3_.num_agpr, 0
	.set _Z6kernelI14subtract_rightLj256ELj1ELb1EJPfS1_jEEvDpT3_.numbered_sgpr, 8
	.set _Z6kernelI14subtract_rightLj256ELj1ELb1EJPfS1_jEEvDpT3_.num_named_barrier, 0
	.set _Z6kernelI14subtract_rightLj256ELj1ELb1EJPfS1_jEEvDpT3_.private_seg_size, 0
	.set _Z6kernelI14subtract_rightLj256ELj1ELb1EJPfS1_jEEvDpT3_.uses_vcc, 1
	.set _Z6kernelI14subtract_rightLj256ELj1ELb1EJPfS1_jEEvDpT3_.uses_flat_scratch, 0
	.set _Z6kernelI14subtract_rightLj256ELj1ELb1EJPfS1_jEEvDpT3_.has_dyn_sized_stack, 0
	.set _Z6kernelI14subtract_rightLj256ELj1ELb1EJPfS1_jEEvDpT3_.has_recursion, 0
	.set _Z6kernelI14subtract_rightLj256ELj1ELb1EJPfS1_jEEvDpT3_.has_indirect_call, 0
	.section	.AMDGPU.csdata,"",@progbits
; Kernel info:
; codeLenInByte = 212
; TotalNumSgprs: 10
; NumVgprs: 3
; ScratchSize: 0
; MemoryBound: 0
; FloatMode: 240
; IeeeMode: 1
; LDSByteSize: 2048 bytes/workgroup (compile time only)
; SGPRBlocks: 0
; VGPRBlocks: 0
; NumSGPRsForWavesPerEU: 10
; NumVGPRsForWavesPerEU: 3
; Occupancy: 16
; WaveLimiterHint : 0
; COMPUTE_PGM_RSRC2:SCRATCH_EN: 0
; COMPUTE_PGM_RSRC2:USER_SGPR: 2
; COMPUTE_PGM_RSRC2:TRAP_HANDLER: 0
; COMPUTE_PGM_RSRC2:TGID_X_EN: 1
; COMPUTE_PGM_RSRC2:TGID_Y_EN: 0
; COMPUTE_PGM_RSRC2:TGID_Z_EN: 0
; COMPUTE_PGM_RSRC2:TIDIG_COMP_CNT: 0
	.section	.text._Z6kernelI14subtract_rightLj256ELj3ELb1EJPfS1_jEEvDpT3_,"axG",@progbits,_Z6kernelI14subtract_rightLj256ELj3ELb1EJPfS1_jEEvDpT3_,comdat
	.protected	_Z6kernelI14subtract_rightLj256ELj3ELb1EJPfS1_jEEvDpT3_ ; -- Begin function _Z6kernelI14subtract_rightLj256ELj3ELb1EJPfS1_jEEvDpT3_
	.globl	_Z6kernelI14subtract_rightLj256ELj3ELb1EJPfS1_jEEvDpT3_
	.p2align	8
	.type	_Z6kernelI14subtract_rightLj256ELj3ELb1EJPfS1_jEEvDpT3_,@function
_Z6kernelI14subtract_rightLj256ELj3ELb1EJPfS1_jEEvDpT3_: ; @_Z6kernelI14subtract_rightLj256ELj3ELb1EJPfS1_jEEvDpT3_
; %bb.0:
	s_load_b128 s[4:7], s[0:1], 0x0
	s_mul_i32 s2, ttmp9, 0x300
	s_mov_b32 s3, 0
	v_lshlrev_b32_e32 v1, 2, v0
	s_lshl_b64 s[2:3], s[2:3], 2
	s_load_b32 s0, s[0:1], 0x10
	s_wait_kmcnt 0x0
	s_add_nc_u64 s[4:5], s[4:5], s[2:3]
	s_clause 0x2
	global_load_b32 v4, v1, s[4:5]
	global_load_b32 v3, v1, s[4:5] offset:1024
	global_load_b32 v2, v1, s[4:5] offset:2048
	s_cmp_eq_u32 s0, 0
	s_cbranch_scc1 .LBB97_5
; %bb.1:
	v_cmp_ne_u32_e32 vcc_lo, 0xff, v0
	s_branch .LBB97_3
.LBB97_2:                               ;   in Loop: Header=BB97_3 Depth=1
	s_or_b32 exec_lo, exec_lo, s1
	v_dual_sub_f32 v5, v4, v3 :: v_dual_sub_f32 v6, v3, v2
	s_wait_dscnt 0x0
	v_sub_f32_e32 v0, v2, v0
	s_add_co_i32 s0, s0, -1
	s_wait_loadcnt 0x0
	v_dual_add_f32 v4, v4, v5 :: v_dual_add_f32 v3, v3, v6
	s_delay_alu instid0(VALU_DEP_2)
	v_add_f32_e32 v2, v2, v0
	s_cmp_lg_u32 s0, 0
	s_barrier_signal -1
	s_barrier_wait -1
	global_inv scope:SCOPE_SE
	s_cbranch_scc0 .LBB97_5
.LBB97_3:                               ; =>This Inner Loop Header: Depth=1
	v_mov_b32_e32 v0, 0x42f60000
	s_wait_loadcnt 0x2
	ds_store_b32 v1, v4 offset:1024
	s_wait_loadcnt_dscnt 0x0
	s_barrier_signal -1
	s_barrier_wait -1
	global_inv scope:SCOPE_SE
	s_and_saveexec_b32 s1, vcc_lo
	s_cbranch_execz .LBB97_2
; %bb.4:                                ;   in Loop: Header=BB97_3 Depth=1
	ds_load_b32 v0, v1 offset:1028
	s_branch .LBB97_2
.LBB97_5:
	s_add_nc_u64 s[0:1], s[6:7], s[2:3]
	s_wait_loadcnt 0x2
	global_store_b32 v1, v4, s[0:1]
	s_wait_loadcnt 0x1
	global_store_b32 v1, v3, s[0:1] offset:1024
	s_wait_loadcnt 0x0
	global_store_b32 v1, v2, s[0:1] offset:2048
	s_endpgm
	.section	.rodata,"a",@progbits
	.p2align	6, 0x0
	.amdhsa_kernel _Z6kernelI14subtract_rightLj256ELj3ELb1EJPfS1_jEEvDpT3_
		.amdhsa_group_segment_fixed_size 2048
		.amdhsa_private_segment_fixed_size 0
		.amdhsa_kernarg_size 20
		.amdhsa_user_sgpr_count 2
		.amdhsa_user_sgpr_dispatch_ptr 0
		.amdhsa_user_sgpr_queue_ptr 0
		.amdhsa_user_sgpr_kernarg_segment_ptr 1
		.amdhsa_user_sgpr_dispatch_id 0
		.amdhsa_user_sgpr_private_segment_size 0
		.amdhsa_wavefront_size32 1
		.amdhsa_uses_dynamic_stack 0
		.amdhsa_enable_private_segment 0
		.amdhsa_system_sgpr_workgroup_id_x 1
		.amdhsa_system_sgpr_workgroup_id_y 0
		.amdhsa_system_sgpr_workgroup_id_z 0
		.amdhsa_system_sgpr_workgroup_info 0
		.amdhsa_system_vgpr_workitem_id 0
		.amdhsa_next_free_vgpr 7
		.amdhsa_next_free_sgpr 8
		.amdhsa_reserve_vcc 1
		.amdhsa_float_round_mode_32 0
		.amdhsa_float_round_mode_16_64 0
		.amdhsa_float_denorm_mode_32 3
		.amdhsa_float_denorm_mode_16_64 3
		.amdhsa_fp16_overflow 0
		.amdhsa_workgroup_processor_mode 1
		.amdhsa_memory_ordered 1
		.amdhsa_forward_progress 1
		.amdhsa_inst_pref_size 3
		.amdhsa_round_robin_scheduling 0
		.amdhsa_exception_fp_ieee_invalid_op 0
		.amdhsa_exception_fp_denorm_src 0
		.amdhsa_exception_fp_ieee_div_zero 0
		.amdhsa_exception_fp_ieee_overflow 0
		.amdhsa_exception_fp_ieee_underflow 0
		.amdhsa_exception_fp_ieee_inexact 0
		.amdhsa_exception_int_div_zero 0
	.end_amdhsa_kernel
	.section	.text._Z6kernelI14subtract_rightLj256ELj3ELb1EJPfS1_jEEvDpT3_,"axG",@progbits,_Z6kernelI14subtract_rightLj256ELj3ELb1EJPfS1_jEEvDpT3_,comdat
.Lfunc_end97:
	.size	_Z6kernelI14subtract_rightLj256ELj3ELb1EJPfS1_jEEvDpT3_, .Lfunc_end97-_Z6kernelI14subtract_rightLj256ELj3ELb1EJPfS1_jEEvDpT3_
                                        ; -- End function
	.set _Z6kernelI14subtract_rightLj256ELj3ELb1EJPfS1_jEEvDpT3_.num_vgpr, 7
	.set _Z6kernelI14subtract_rightLj256ELj3ELb1EJPfS1_jEEvDpT3_.num_agpr, 0
	.set _Z6kernelI14subtract_rightLj256ELj3ELb1EJPfS1_jEEvDpT3_.numbered_sgpr, 8
	.set _Z6kernelI14subtract_rightLj256ELj3ELb1EJPfS1_jEEvDpT3_.num_named_barrier, 0
	.set _Z6kernelI14subtract_rightLj256ELj3ELb1EJPfS1_jEEvDpT3_.private_seg_size, 0
	.set _Z6kernelI14subtract_rightLj256ELj3ELb1EJPfS1_jEEvDpT3_.uses_vcc, 1
	.set _Z6kernelI14subtract_rightLj256ELj3ELb1EJPfS1_jEEvDpT3_.uses_flat_scratch, 0
	.set _Z6kernelI14subtract_rightLj256ELj3ELb1EJPfS1_jEEvDpT3_.has_dyn_sized_stack, 0
	.set _Z6kernelI14subtract_rightLj256ELj3ELb1EJPfS1_jEEvDpT3_.has_recursion, 0
	.set _Z6kernelI14subtract_rightLj256ELj3ELb1EJPfS1_jEEvDpT3_.has_indirect_call, 0
	.section	.AMDGPU.csdata,"",@progbits
; Kernel info:
; codeLenInByte = 296
; TotalNumSgprs: 10
; NumVgprs: 7
; ScratchSize: 0
; MemoryBound: 0
; FloatMode: 240
; IeeeMode: 1
; LDSByteSize: 2048 bytes/workgroup (compile time only)
; SGPRBlocks: 0
; VGPRBlocks: 0
; NumSGPRsForWavesPerEU: 10
; NumVGPRsForWavesPerEU: 7
; Occupancy: 16
; WaveLimiterHint : 1
; COMPUTE_PGM_RSRC2:SCRATCH_EN: 0
; COMPUTE_PGM_RSRC2:USER_SGPR: 2
; COMPUTE_PGM_RSRC2:TRAP_HANDLER: 0
; COMPUTE_PGM_RSRC2:TGID_X_EN: 1
; COMPUTE_PGM_RSRC2:TGID_Y_EN: 0
; COMPUTE_PGM_RSRC2:TGID_Z_EN: 0
; COMPUTE_PGM_RSRC2:TIDIG_COMP_CNT: 0
	.section	.text._Z6kernelI14subtract_rightLj256ELj4ELb1EJPfS1_jEEvDpT3_,"axG",@progbits,_Z6kernelI14subtract_rightLj256ELj4ELb1EJPfS1_jEEvDpT3_,comdat
	.protected	_Z6kernelI14subtract_rightLj256ELj4ELb1EJPfS1_jEEvDpT3_ ; -- Begin function _Z6kernelI14subtract_rightLj256ELj4ELb1EJPfS1_jEEvDpT3_
	.globl	_Z6kernelI14subtract_rightLj256ELj4ELb1EJPfS1_jEEvDpT3_
	.p2align	8
	.type	_Z6kernelI14subtract_rightLj256ELj4ELb1EJPfS1_jEEvDpT3_,@function
_Z6kernelI14subtract_rightLj256ELj4ELb1EJPfS1_jEEvDpT3_: ; @_Z6kernelI14subtract_rightLj256ELj4ELb1EJPfS1_jEEvDpT3_
; %bb.0:
	s_load_b128 s[4:7], s[0:1], 0x0
	s_lshl_b32 s2, ttmp9, 10
	s_mov_b32 s3, 0
	v_lshlrev_b32_e32 v1, 2, v0
	s_lshl_b64 s[2:3], s[2:3], 2
	s_load_b32 s0, s[0:1], 0x10
	s_wait_kmcnt 0x0
	s_add_nc_u64 s[4:5], s[4:5], s[2:3]
	s_clause 0x3
	global_load_b32 v5, v1, s[4:5]
	global_load_b32 v4, v1, s[4:5] offset:1024
	global_load_b32 v3, v1, s[4:5] offset:2048
	;; [unrolled: 1-line block ×3, first 2 shown]
	s_cmp_eq_u32 s0, 0
	s_cbranch_scc1 .LBB98_5
; %bb.1:
	v_cmp_ne_u32_e32 vcc_lo, 0xff, v0
	s_branch .LBB98_3
.LBB98_2:                               ;   in Loop: Header=BB98_3 Depth=1
	s_or_b32 exec_lo, exec_lo, s1
	v_dual_sub_f32 v6, v5, v4 :: v_dual_sub_f32 v7, v4, v3
	v_sub_f32_e32 v8, v3, v2
	s_wait_dscnt 0x0
	v_sub_f32_e32 v0, v2, v0
	s_add_co_i32 s0, s0, -1
	v_dual_add_f32 v5, v5, v6 :: v_dual_add_f32 v4, v4, v7
	v_add_f32_e32 v3, v3, v8
	s_delay_alu instid0(VALU_DEP_3)
	v_add_f32_e32 v2, v2, v0
	s_cmp_lg_u32 s0, 0
	s_wait_loadcnt 0x0
	s_barrier_signal -1
	s_barrier_wait -1
	global_inv scope:SCOPE_SE
	s_cbranch_scc0 .LBB98_5
.LBB98_3:                               ; =>This Inner Loop Header: Depth=1
	v_mov_b32_e32 v0, 0x42f60000
	s_wait_loadcnt 0x3
	ds_store_b32 v1, v5 offset:1024
	s_wait_loadcnt_dscnt 0x0
	s_barrier_signal -1
	s_barrier_wait -1
	global_inv scope:SCOPE_SE
	s_and_saveexec_b32 s1, vcc_lo
	s_cbranch_execz .LBB98_2
; %bb.4:                                ;   in Loop: Header=BB98_3 Depth=1
	ds_load_b32 v0, v1 offset:1028
	s_branch .LBB98_2
.LBB98_5:
	s_add_nc_u64 s[0:1], s[6:7], s[2:3]
	s_wait_loadcnt 0x3
	global_store_b32 v1, v5, s[0:1]
	s_wait_loadcnt 0x2
	global_store_b32 v1, v4, s[0:1] offset:1024
	s_wait_loadcnt 0x1
	global_store_b32 v1, v3, s[0:1] offset:2048
	;; [unrolled: 2-line block ×3, first 2 shown]
	s_endpgm
	.section	.rodata,"a",@progbits
	.p2align	6, 0x0
	.amdhsa_kernel _Z6kernelI14subtract_rightLj256ELj4ELb1EJPfS1_jEEvDpT3_
		.amdhsa_group_segment_fixed_size 2048
		.amdhsa_private_segment_fixed_size 0
		.amdhsa_kernarg_size 20
		.amdhsa_user_sgpr_count 2
		.amdhsa_user_sgpr_dispatch_ptr 0
		.amdhsa_user_sgpr_queue_ptr 0
		.amdhsa_user_sgpr_kernarg_segment_ptr 1
		.amdhsa_user_sgpr_dispatch_id 0
		.amdhsa_user_sgpr_private_segment_size 0
		.amdhsa_wavefront_size32 1
		.amdhsa_uses_dynamic_stack 0
		.amdhsa_enable_private_segment 0
		.amdhsa_system_sgpr_workgroup_id_x 1
		.amdhsa_system_sgpr_workgroup_id_y 0
		.amdhsa_system_sgpr_workgroup_id_z 0
		.amdhsa_system_sgpr_workgroup_info 0
		.amdhsa_system_vgpr_workitem_id 0
		.amdhsa_next_free_vgpr 9
		.amdhsa_next_free_sgpr 8
		.amdhsa_reserve_vcc 1
		.amdhsa_float_round_mode_32 0
		.amdhsa_float_round_mode_16_64 0
		.amdhsa_float_denorm_mode_32 3
		.amdhsa_float_denorm_mode_16_64 3
		.amdhsa_fp16_overflow 0
		.amdhsa_workgroup_processor_mode 1
		.amdhsa_memory_ordered 1
		.amdhsa_forward_progress 1
		.amdhsa_inst_pref_size 3
		.amdhsa_round_robin_scheduling 0
		.amdhsa_exception_fp_ieee_invalid_op 0
		.amdhsa_exception_fp_denorm_src 0
		.amdhsa_exception_fp_ieee_div_zero 0
		.amdhsa_exception_fp_ieee_overflow 0
		.amdhsa_exception_fp_ieee_underflow 0
		.amdhsa_exception_fp_ieee_inexact 0
		.amdhsa_exception_int_div_zero 0
	.end_amdhsa_kernel
	.section	.text._Z6kernelI14subtract_rightLj256ELj4ELb1EJPfS1_jEEvDpT3_,"axG",@progbits,_Z6kernelI14subtract_rightLj256ELj4ELb1EJPfS1_jEEvDpT3_,comdat
.Lfunc_end98:
	.size	_Z6kernelI14subtract_rightLj256ELj4ELb1EJPfS1_jEEvDpT3_, .Lfunc_end98-_Z6kernelI14subtract_rightLj256ELj4ELb1EJPfS1_jEEvDpT3_
                                        ; -- End function
	.set _Z6kernelI14subtract_rightLj256ELj4ELb1EJPfS1_jEEvDpT3_.num_vgpr, 9
	.set _Z6kernelI14subtract_rightLj256ELj4ELb1EJPfS1_jEEvDpT3_.num_agpr, 0
	.set _Z6kernelI14subtract_rightLj256ELj4ELb1EJPfS1_jEEvDpT3_.numbered_sgpr, 8
	.set _Z6kernelI14subtract_rightLj256ELj4ELb1EJPfS1_jEEvDpT3_.num_named_barrier, 0
	.set _Z6kernelI14subtract_rightLj256ELj4ELb1EJPfS1_jEEvDpT3_.private_seg_size, 0
	.set _Z6kernelI14subtract_rightLj256ELj4ELb1EJPfS1_jEEvDpT3_.uses_vcc, 1
	.set _Z6kernelI14subtract_rightLj256ELj4ELb1EJPfS1_jEEvDpT3_.uses_flat_scratch, 0
	.set _Z6kernelI14subtract_rightLj256ELj4ELb1EJPfS1_jEEvDpT3_.has_dyn_sized_stack, 0
	.set _Z6kernelI14subtract_rightLj256ELj4ELb1EJPfS1_jEEvDpT3_.has_recursion, 0
	.set _Z6kernelI14subtract_rightLj256ELj4ELb1EJPfS1_jEEvDpT3_.has_indirect_call, 0
	.section	.AMDGPU.csdata,"",@progbits
; Kernel info:
; codeLenInByte = 328
; TotalNumSgprs: 10
; NumVgprs: 9
; ScratchSize: 0
; MemoryBound: 0
; FloatMode: 240
; IeeeMode: 1
; LDSByteSize: 2048 bytes/workgroup (compile time only)
; SGPRBlocks: 0
; VGPRBlocks: 1
; NumSGPRsForWavesPerEU: 10
; NumVGPRsForWavesPerEU: 9
; Occupancy: 16
; WaveLimiterHint : 1
; COMPUTE_PGM_RSRC2:SCRATCH_EN: 0
; COMPUTE_PGM_RSRC2:USER_SGPR: 2
; COMPUTE_PGM_RSRC2:TRAP_HANDLER: 0
; COMPUTE_PGM_RSRC2:TGID_X_EN: 1
; COMPUTE_PGM_RSRC2:TGID_Y_EN: 0
; COMPUTE_PGM_RSRC2:TGID_Z_EN: 0
; COMPUTE_PGM_RSRC2:TIDIG_COMP_CNT: 0
	.section	.text._Z6kernelI14subtract_rightLj256ELj8ELb1EJPfS1_jEEvDpT3_,"axG",@progbits,_Z6kernelI14subtract_rightLj256ELj8ELb1EJPfS1_jEEvDpT3_,comdat
	.protected	_Z6kernelI14subtract_rightLj256ELj8ELb1EJPfS1_jEEvDpT3_ ; -- Begin function _Z6kernelI14subtract_rightLj256ELj8ELb1EJPfS1_jEEvDpT3_
	.globl	_Z6kernelI14subtract_rightLj256ELj8ELb1EJPfS1_jEEvDpT3_
	.p2align	8
	.type	_Z6kernelI14subtract_rightLj256ELj8ELb1EJPfS1_jEEvDpT3_,@function
_Z6kernelI14subtract_rightLj256ELj8ELb1EJPfS1_jEEvDpT3_: ; @_Z6kernelI14subtract_rightLj256ELj8ELb1EJPfS1_jEEvDpT3_
; %bb.0:
	s_load_b128 s[4:7], s[0:1], 0x0
	s_lshl_b32 s2, ttmp9, 11
	s_mov_b32 s3, 0
	v_lshlrev_b32_e32 v1, 2, v0
	s_lshl_b64 s[2:3], s[2:3], 2
	s_load_b32 s0, s[0:1], 0x10
	s_wait_kmcnt 0x0
	s_add_nc_u64 s[4:5], s[4:5], s[2:3]
	s_clause 0x7
	global_load_b32 v9, v1, s[4:5]
	global_load_b32 v8, v1, s[4:5] offset:1024
	global_load_b32 v7, v1, s[4:5] offset:2048
	;; [unrolled: 1-line block ×7, first 2 shown]
	s_cmp_eq_u32 s0, 0
	s_cbranch_scc1 .LBB99_5
; %bb.1:
	v_cmp_ne_u32_e32 vcc_lo, 0xff, v0
	s_branch .LBB99_3
.LBB99_2:                               ;   in Loop: Header=BB99_3 Depth=1
	s_or_b32 exec_lo, exec_lo, s1
	v_dual_sub_f32 v10, v9, v8 :: v_dual_sub_f32 v11, v8, v7
	v_dual_sub_f32 v12, v7, v6 :: v_dual_sub_f32 v13, v6, v5
	;; [unrolled: 1-line block ×3, first 2 shown]
	v_sub_f32_e32 v16, v3, v2
	s_wait_dscnt 0x0
	v_dual_sub_f32 v0, v2, v0 :: v_dual_add_f32 v9, v9, v10
	v_dual_add_f32 v8, v8, v11 :: v_dual_add_f32 v7, v7, v12
	v_dual_add_f32 v6, v6, v13 :: v_dual_add_f32 v5, v5, v14
	;; [unrolled: 1-line block ×3, first 2 shown]
	s_delay_alu instid0(VALU_DEP_4)
	v_add_f32_e32 v2, v2, v0
	s_add_co_i32 s0, s0, -1
	s_wait_loadcnt 0x0
	s_cmp_lg_u32 s0, 0
	s_barrier_signal -1
	s_barrier_wait -1
	global_inv scope:SCOPE_SE
	s_cbranch_scc0 .LBB99_5
.LBB99_3:                               ; =>This Inner Loop Header: Depth=1
	v_mov_b32_e32 v0, 0x42f60000
	s_wait_loadcnt 0x7
	ds_store_b32 v1, v9 offset:1024
	s_wait_loadcnt_dscnt 0x0
	s_barrier_signal -1
	s_barrier_wait -1
	global_inv scope:SCOPE_SE
	s_and_saveexec_b32 s1, vcc_lo
	s_cbranch_execz .LBB99_2
; %bb.4:                                ;   in Loop: Header=BB99_3 Depth=1
	ds_load_b32 v0, v1 offset:1028
	s_branch .LBB99_2
.LBB99_5:
	s_add_nc_u64 s[0:1], s[6:7], s[2:3]
	s_wait_loadcnt 0x7
	global_store_b32 v1, v9, s[0:1]
	s_wait_loadcnt 0x6
	global_store_b32 v1, v8, s[0:1] offset:1024
	s_wait_loadcnt 0x5
	global_store_b32 v1, v7, s[0:1] offset:2048
	;; [unrolled: 2-line block ×7, first 2 shown]
	s_endpgm
	.section	.rodata,"a",@progbits
	.p2align	6, 0x0
	.amdhsa_kernel _Z6kernelI14subtract_rightLj256ELj8ELb1EJPfS1_jEEvDpT3_
		.amdhsa_group_segment_fixed_size 2048
		.amdhsa_private_segment_fixed_size 0
		.amdhsa_kernarg_size 20
		.amdhsa_user_sgpr_count 2
		.amdhsa_user_sgpr_dispatch_ptr 0
		.amdhsa_user_sgpr_queue_ptr 0
		.amdhsa_user_sgpr_kernarg_segment_ptr 1
		.amdhsa_user_sgpr_dispatch_id 0
		.amdhsa_user_sgpr_private_segment_size 0
		.amdhsa_wavefront_size32 1
		.amdhsa_uses_dynamic_stack 0
		.amdhsa_enable_private_segment 0
		.amdhsa_system_sgpr_workgroup_id_x 1
		.amdhsa_system_sgpr_workgroup_id_y 0
		.amdhsa_system_sgpr_workgroup_id_z 0
		.amdhsa_system_sgpr_workgroup_info 0
		.amdhsa_system_vgpr_workitem_id 0
		.amdhsa_next_free_vgpr 17
		.amdhsa_next_free_sgpr 8
		.amdhsa_reserve_vcc 1
		.amdhsa_float_round_mode_32 0
		.amdhsa_float_round_mode_16_64 0
		.amdhsa_float_denorm_mode_32 3
		.amdhsa_float_denorm_mode_16_64 3
		.amdhsa_fp16_overflow 0
		.amdhsa_workgroup_processor_mode 1
		.amdhsa_memory_ordered 1
		.amdhsa_forward_progress 1
		.amdhsa_inst_pref_size 4
		.amdhsa_round_robin_scheduling 0
		.amdhsa_exception_fp_ieee_invalid_op 0
		.amdhsa_exception_fp_denorm_src 0
		.amdhsa_exception_fp_ieee_div_zero 0
		.amdhsa_exception_fp_ieee_overflow 0
		.amdhsa_exception_fp_ieee_underflow 0
		.amdhsa_exception_fp_ieee_inexact 0
		.amdhsa_exception_int_div_zero 0
	.end_amdhsa_kernel
	.section	.text._Z6kernelI14subtract_rightLj256ELj8ELb1EJPfS1_jEEvDpT3_,"axG",@progbits,_Z6kernelI14subtract_rightLj256ELj8ELb1EJPfS1_jEEvDpT3_,comdat
.Lfunc_end99:
	.size	_Z6kernelI14subtract_rightLj256ELj8ELb1EJPfS1_jEEvDpT3_, .Lfunc_end99-_Z6kernelI14subtract_rightLj256ELj8ELb1EJPfS1_jEEvDpT3_
                                        ; -- End function
	.set _Z6kernelI14subtract_rightLj256ELj8ELb1EJPfS1_jEEvDpT3_.num_vgpr, 17
	.set _Z6kernelI14subtract_rightLj256ELj8ELb1EJPfS1_jEEvDpT3_.num_agpr, 0
	.set _Z6kernelI14subtract_rightLj256ELj8ELb1EJPfS1_jEEvDpT3_.numbered_sgpr, 8
	.set _Z6kernelI14subtract_rightLj256ELj8ELb1EJPfS1_jEEvDpT3_.num_named_barrier, 0
	.set _Z6kernelI14subtract_rightLj256ELj8ELb1EJPfS1_jEEvDpT3_.private_seg_size, 0
	.set _Z6kernelI14subtract_rightLj256ELj8ELb1EJPfS1_jEEvDpT3_.uses_vcc, 1
	.set _Z6kernelI14subtract_rightLj256ELj8ELb1EJPfS1_jEEvDpT3_.uses_flat_scratch, 0
	.set _Z6kernelI14subtract_rightLj256ELj8ELb1EJPfS1_jEEvDpT3_.has_dyn_sized_stack, 0
	.set _Z6kernelI14subtract_rightLj256ELj8ELb1EJPfS1_jEEvDpT3_.has_recursion, 0
	.set _Z6kernelI14subtract_rightLj256ELj8ELb1EJPfS1_jEEvDpT3_.has_indirect_call, 0
	.section	.AMDGPU.csdata,"",@progbits
; Kernel info:
; codeLenInByte = 472
; TotalNumSgprs: 10
; NumVgprs: 17
; ScratchSize: 0
; MemoryBound: 0
; FloatMode: 240
; IeeeMode: 1
; LDSByteSize: 2048 bytes/workgroup (compile time only)
; SGPRBlocks: 0
; VGPRBlocks: 2
; NumSGPRsForWavesPerEU: 10
; NumVGPRsForWavesPerEU: 17
; Occupancy: 16
; WaveLimiterHint : 1
; COMPUTE_PGM_RSRC2:SCRATCH_EN: 0
; COMPUTE_PGM_RSRC2:USER_SGPR: 2
; COMPUTE_PGM_RSRC2:TRAP_HANDLER: 0
; COMPUTE_PGM_RSRC2:TGID_X_EN: 1
; COMPUTE_PGM_RSRC2:TGID_Y_EN: 0
; COMPUTE_PGM_RSRC2:TGID_Z_EN: 0
; COMPUTE_PGM_RSRC2:TIDIG_COMP_CNT: 0
	.section	.text._Z6kernelI14subtract_rightLj256ELj16ELb1EJPfS1_jEEvDpT3_,"axG",@progbits,_Z6kernelI14subtract_rightLj256ELj16ELb1EJPfS1_jEEvDpT3_,comdat
	.protected	_Z6kernelI14subtract_rightLj256ELj16ELb1EJPfS1_jEEvDpT3_ ; -- Begin function _Z6kernelI14subtract_rightLj256ELj16ELb1EJPfS1_jEEvDpT3_
	.globl	_Z6kernelI14subtract_rightLj256ELj16ELb1EJPfS1_jEEvDpT3_
	.p2align	8
	.type	_Z6kernelI14subtract_rightLj256ELj16ELb1EJPfS1_jEEvDpT3_,@function
_Z6kernelI14subtract_rightLj256ELj16ELb1EJPfS1_jEEvDpT3_: ; @_Z6kernelI14subtract_rightLj256ELj16ELb1EJPfS1_jEEvDpT3_
; %bb.0:
	s_load_b128 s[4:7], s[0:1], 0x0
	s_lshl_b32 s2, ttmp9, 12
	s_mov_b32 s3, 0
	v_lshlrev_b32_e32 v1, 2, v0
	s_lshl_b64 s[2:3], s[2:3], 2
	s_load_b32 s0, s[0:1], 0x10
	s_wait_kmcnt 0x0
	s_add_nc_u64 s[4:5], s[4:5], s[2:3]
	s_clause 0xf
	global_load_b32 v17, v1, s[4:5]
	global_load_b32 v16, v1, s[4:5] offset:1024
	global_load_b32 v15, v1, s[4:5] offset:2048
	;; [unrolled: 1-line block ×15, first 2 shown]
	s_cmp_eq_u32 s0, 0
	s_cbranch_scc1 .LBB100_5
; %bb.1:
	v_cmp_ne_u32_e32 vcc_lo, 0xff, v0
	s_branch .LBB100_3
.LBB100_2:                              ;   in Loop: Header=BB100_3 Depth=1
	s_or_b32 exec_lo, exec_lo, s1
	v_dual_sub_f32 v18, v17, v16 :: v_dual_sub_f32 v19, v16, v15
	v_dual_sub_f32 v20, v15, v14 :: v_dual_sub_f32 v21, v14, v13
	;; [unrolled: 1-line block ×7, first 2 shown]
	v_sub_f32_e32 v32, v3, v2
	s_wait_dscnt 0x0
	v_dual_sub_f32 v0, v2, v0 :: v_dual_add_f32 v17, v17, v18
	v_dual_add_f32 v16, v16, v19 :: v_dual_add_f32 v15, v15, v20
	v_dual_add_f32 v14, v14, v21 :: v_dual_add_f32 v13, v13, v22
	v_dual_add_f32 v12, v12, v23 :: v_dual_add_f32 v11, v11, v24
	v_dual_add_f32 v10, v10, v25 :: v_dual_add_f32 v9, v9, v26
	v_dual_add_f32 v8, v8, v27 :: v_dual_add_f32 v7, v7, v28
	v_dual_add_f32 v6, v6, v29 :: v_dual_add_f32 v5, v5, v30
	v_dual_add_f32 v4, v4, v31 :: v_dual_add_f32 v3, v3, v32
	v_add_f32_e32 v2, v2, v0
	s_add_co_i32 s0, s0, -1
	s_wait_loadcnt 0x0
	s_cmp_lg_u32 s0, 0
	s_barrier_signal -1
	s_barrier_wait -1
	global_inv scope:SCOPE_SE
	s_cbranch_scc0 .LBB100_5
.LBB100_3:                              ; =>This Inner Loop Header: Depth=1
	v_mov_b32_e32 v0, 0x42f60000
	s_wait_loadcnt 0xf
	ds_store_b32 v1, v17 offset:1024
	s_wait_loadcnt_dscnt 0x0
	s_barrier_signal -1
	s_barrier_wait -1
	global_inv scope:SCOPE_SE
	s_and_saveexec_b32 s1, vcc_lo
	s_cbranch_execz .LBB100_2
; %bb.4:                                ;   in Loop: Header=BB100_3 Depth=1
	ds_load_b32 v0, v1 offset:1028
	s_branch .LBB100_2
.LBB100_5:
	s_add_nc_u64 s[0:1], s[6:7], s[2:3]
	s_wait_loadcnt 0xf
	global_store_b32 v1, v17, s[0:1]
	s_wait_loadcnt 0xe
	global_store_b32 v1, v16, s[0:1] offset:1024
	s_wait_loadcnt 0xd
	global_store_b32 v1, v15, s[0:1] offset:2048
	;; [unrolled: 2-line block ×15, first 2 shown]
	s_endpgm
	.section	.rodata,"a",@progbits
	.p2align	6, 0x0
	.amdhsa_kernel _Z6kernelI14subtract_rightLj256ELj16ELb1EJPfS1_jEEvDpT3_
		.amdhsa_group_segment_fixed_size 2048
		.amdhsa_private_segment_fixed_size 0
		.amdhsa_kernarg_size 20
		.amdhsa_user_sgpr_count 2
		.amdhsa_user_sgpr_dispatch_ptr 0
		.amdhsa_user_sgpr_queue_ptr 0
		.amdhsa_user_sgpr_kernarg_segment_ptr 1
		.amdhsa_user_sgpr_dispatch_id 0
		.amdhsa_user_sgpr_private_segment_size 0
		.amdhsa_wavefront_size32 1
		.amdhsa_uses_dynamic_stack 0
		.amdhsa_enable_private_segment 0
		.amdhsa_system_sgpr_workgroup_id_x 1
		.amdhsa_system_sgpr_workgroup_id_y 0
		.amdhsa_system_sgpr_workgroup_id_z 0
		.amdhsa_system_sgpr_workgroup_info 0
		.amdhsa_system_vgpr_workitem_id 0
		.amdhsa_next_free_vgpr 33
		.amdhsa_next_free_sgpr 8
		.amdhsa_reserve_vcc 1
		.amdhsa_float_round_mode_32 0
		.amdhsa_float_round_mode_16_64 0
		.amdhsa_float_denorm_mode_32 3
		.amdhsa_float_denorm_mode_16_64 3
		.amdhsa_fp16_overflow 0
		.amdhsa_workgroup_processor_mode 1
		.amdhsa_memory_ordered 1
		.amdhsa_forward_progress 1
		.amdhsa_inst_pref_size 6
		.amdhsa_round_robin_scheduling 0
		.amdhsa_exception_fp_ieee_invalid_op 0
		.amdhsa_exception_fp_denorm_src 0
		.amdhsa_exception_fp_ieee_div_zero 0
		.amdhsa_exception_fp_ieee_overflow 0
		.amdhsa_exception_fp_ieee_underflow 0
		.amdhsa_exception_fp_ieee_inexact 0
		.amdhsa_exception_int_div_zero 0
	.end_amdhsa_kernel
	.section	.text._Z6kernelI14subtract_rightLj256ELj16ELb1EJPfS1_jEEvDpT3_,"axG",@progbits,_Z6kernelI14subtract_rightLj256ELj16ELb1EJPfS1_jEEvDpT3_,comdat
.Lfunc_end100:
	.size	_Z6kernelI14subtract_rightLj256ELj16ELb1EJPfS1_jEEvDpT3_, .Lfunc_end100-_Z6kernelI14subtract_rightLj256ELj16ELb1EJPfS1_jEEvDpT3_
                                        ; -- End function
	.set _Z6kernelI14subtract_rightLj256ELj16ELb1EJPfS1_jEEvDpT3_.num_vgpr, 33
	.set _Z6kernelI14subtract_rightLj256ELj16ELb1EJPfS1_jEEvDpT3_.num_agpr, 0
	.set _Z6kernelI14subtract_rightLj256ELj16ELb1EJPfS1_jEEvDpT3_.numbered_sgpr, 8
	.set _Z6kernelI14subtract_rightLj256ELj16ELb1EJPfS1_jEEvDpT3_.num_named_barrier, 0
	.set _Z6kernelI14subtract_rightLj256ELj16ELb1EJPfS1_jEEvDpT3_.private_seg_size, 0
	.set _Z6kernelI14subtract_rightLj256ELj16ELb1EJPfS1_jEEvDpT3_.uses_vcc, 1
	.set _Z6kernelI14subtract_rightLj256ELj16ELb1EJPfS1_jEEvDpT3_.uses_flat_scratch, 0
	.set _Z6kernelI14subtract_rightLj256ELj16ELb1EJPfS1_jEEvDpT3_.has_dyn_sized_stack, 0
	.set _Z6kernelI14subtract_rightLj256ELj16ELb1EJPfS1_jEEvDpT3_.has_recursion, 0
	.set _Z6kernelI14subtract_rightLj256ELj16ELb1EJPfS1_jEEvDpT3_.has_indirect_call, 0
	.section	.AMDGPU.csdata,"",@progbits
; Kernel info:
; codeLenInByte = 756
; TotalNumSgprs: 10
; NumVgprs: 33
; ScratchSize: 0
; MemoryBound: 0
; FloatMode: 240
; IeeeMode: 1
; LDSByteSize: 2048 bytes/workgroup (compile time only)
; SGPRBlocks: 0
; VGPRBlocks: 4
; NumSGPRsForWavesPerEU: 10
; NumVGPRsForWavesPerEU: 33
; Occupancy: 16
; WaveLimiterHint : 1
; COMPUTE_PGM_RSRC2:SCRATCH_EN: 0
; COMPUTE_PGM_RSRC2:USER_SGPR: 2
; COMPUTE_PGM_RSRC2:TRAP_HANDLER: 0
; COMPUTE_PGM_RSRC2:TGID_X_EN: 1
; COMPUTE_PGM_RSRC2:TGID_Y_EN: 0
; COMPUTE_PGM_RSRC2:TGID_Z_EN: 0
; COMPUTE_PGM_RSRC2:TIDIG_COMP_CNT: 0
	.section	.text._Z6kernelI14subtract_rightLj256ELj32ELb1EJPfS1_jEEvDpT3_,"axG",@progbits,_Z6kernelI14subtract_rightLj256ELj32ELb1EJPfS1_jEEvDpT3_,comdat
	.protected	_Z6kernelI14subtract_rightLj256ELj32ELb1EJPfS1_jEEvDpT3_ ; -- Begin function _Z6kernelI14subtract_rightLj256ELj32ELb1EJPfS1_jEEvDpT3_
	.globl	_Z6kernelI14subtract_rightLj256ELj32ELb1EJPfS1_jEEvDpT3_
	.p2align	8
	.type	_Z6kernelI14subtract_rightLj256ELj32ELb1EJPfS1_jEEvDpT3_,@function
_Z6kernelI14subtract_rightLj256ELj32ELb1EJPfS1_jEEvDpT3_: ; @_Z6kernelI14subtract_rightLj256ELj32ELb1EJPfS1_jEEvDpT3_
; %bb.0:
	s_load_b128 s[4:7], s[0:1], 0x0
	s_lshl_b32 s2, ttmp9, 13
	s_mov_b32 s3, 0
	v_lshlrev_b32_e32 v1, 2, v0
	s_lshl_b64 s[2:3], s[2:3], 2
	s_load_b32 s0, s[0:1], 0x10
	s_wait_kmcnt 0x0
	s_add_nc_u64 s[4:5], s[4:5], s[2:3]
	s_clause 0x1f
	global_load_b32 v33, v1, s[4:5]
	global_load_b32 v32, v1, s[4:5] offset:1024
	global_load_b32 v31, v1, s[4:5] offset:2048
	;; [unrolled: 1-line block ×31, first 2 shown]
	s_cmp_eq_u32 s0, 0
	s_cbranch_scc1 .LBB101_5
; %bb.1:
	v_cmp_ne_u32_e32 vcc_lo, 0xff, v0
	s_branch .LBB101_3
.LBB101_2:                              ;   in Loop: Header=BB101_3 Depth=1
	s_or_b32 exec_lo, exec_lo, s1
	v_dual_sub_f32 v34, v33, v32 :: v_dual_sub_f32 v35, v32, v31
	v_dual_sub_f32 v36, v31, v30 :: v_dual_sub_f32 v37, v30, v29
	;; [unrolled: 1-line block ×15, first 2 shown]
	v_sub_f32_e32 v64, v3, v2
	s_wait_dscnt 0x0
	v_dual_sub_f32 v0, v2, v0 :: v_dual_add_f32 v33, v33, v34
	v_dual_add_f32 v32, v32, v35 :: v_dual_add_f32 v31, v31, v36
	v_dual_add_f32 v30, v30, v37 :: v_dual_add_f32 v29, v29, v38
	;; [unrolled: 1-line block ×15, first 2 shown]
	v_add_f32_e32 v2, v2, v0
	s_add_co_i32 s0, s0, -1
	s_wait_loadcnt 0x0
	s_cmp_lg_u32 s0, 0
	s_barrier_signal -1
	s_barrier_wait -1
	global_inv scope:SCOPE_SE
	s_cbranch_scc0 .LBB101_5
.LBB101_3:                              ; =>This Inner Loop Header: Depth=1
	v_mov_b32_e32 v0, 0x42f60000
	s_wait_loadcnt 0x1f
	ds_store_b32 v1, v33 offset:1024
	s_wait_loadcnt_dscnt 0x0
	s_barrier_signal -1
	s_barrier_wait -1
	global_inv scope:SCOPE_SE
	s_and_saveexec_b32 s1, vcc_lo
	s_cbranch_execz .LBB101_2
; %bb.4:                                ;   in Loop: Header=BB101_3 Depth=1
	ds_load_b32 v0, v1 offset:1028
	s_branch .LBB101_2
.LBB101_5:
	s_add_nc_u64 s[0:1], s[6:7], s[2:3]
	s_wait_loadcnt 0x1f
	global_store_b32 v1, v33, s[0:1]
	s_wait_loadcnt 0x1e
	global_store_b32 v1, v32, s[0:1] offset:1024
	s_wait_loadcnt 0x1d
	global_store_b32 v1, v31, s[0:1] offset:2048
	;; [unrolled: 2-line block ×31, first 2 shown]
	s_endpgm
	.section	.rodata,"a",@progbits
	.p2align	6, 0x0
	.amdhsa_kernel _Z6kernelI14subtract_rightLj256ELj32ELb1EJPfS1_jEEvDpT3_
		.amdhsa_group_segment_fixed_size 2048
		.amdhsa_private_segment_fixed_size 0
		.amdhsa_kernarg_size 20
		.amdhsa_user_sgpr_count 2
		.amdhsa_user_sgpr_dispatch_ptr 0
		.amdhsa_user_sgpr_queue_ptr 0
		.amdhsa_user_sgpr_kernarg_segment_ptr 1
		.amdhsa_user_sgpr_dispatch_id 0
		.amdhsa_user_sgpr_private_segment_size 0
		.amdhsa_wavefront_size32 1
		.amdhsa_uses_dynamic_stack 0
		.amdhsa_enable_private_segment 0
		.amdhsa_system_sgpr_workgroup_id_x 1
		.amdhsa_system_sgpr_workgroup_id_y 0
		.amdhsa_system_sgpr_workgroup_id_z 0
		.amdhsa_system_sgpr_workgroup_info 0
		.amdhsa_system_vgpr_workitem_id 0
		.amdhsa_next_free_vgpr 65
		.amdhsa_next_free_sgpr 8
		.amdhsa_reserve_vcc 1
		.amdhsa_float_round_mode_32 0
		.amdhsa_float_round_mode_16_64 0
		.amdhsa_float_denorm_mode_32 3
		.amdhsa_float_denorm_mode_16_64 3
		.amdhsa_fp16_overflow 0
		.amdhsa_workgroup_processor_mode 1
		.amdhsa_memory_ordered 1
		.amdhsa_forward_progress 1
		.amdhsa_inst_pref_size 11
		.amdhsa_round_robin_scheduling 0
		.amdhsa_exception_fp_ieee_invalid_op 0
		.amdhsa_exception_fp_denorm_src 0
		.amdhsa_exception_fp_ieee_div_zero 0
		.amdhsa_exception_fp_ieee_overflow 0
		.amdhsa_exception_fp_ieee_underflow 0
		.amdhsa_exception_fp_ieee_inexact 0
		.amdhsa_exception_int_div_zero 0
	.end_amdhsa_kernel
	.section	.text._Z6kernelI14subtract_rightLj256ELj32ELb1EJPfS1_jEEvDpT3_,"axG",@progbits,_Z6kernelI14subtract_rightLj256ELj32ELb1EJPfS1_jEEvDpT3_,comdat
.Lfunc_end101:
	.size	_Z6kernelI14subtract_rightLj256ELj32ELb1EJPfS1_jEEvDpT3_, .Lfunc_end101-_Z6kernelI14subtract_rightLj256ELj32ELb1EJPfS1_jEEvDpT3_
                                        ; -- End function
	.set _Z6kernelI14subtract_rightLj256ELj32ELb1EJPfS1_jEEvDpT3_.num_vgpr, 65
	.set _Z6kernelI14subtract_rightLj256ELj32ELb1EJPfS1_jEEvDpT3_.num_agpr, 0
	.set _Z6kernelI14subtract_rightLj256ELj32ELb1EJPfS1_jEEvDpT3_.numbered_sgpr, 8
	.set _Z6kernelI14subtract_rightLj256ELj32ELb1EJPfS1_jEEvDpT3_.num_named_barrier, 0
	.set _Z6kernelI14subtract_rightLj256ELj32ELb1EJPfS1_jEEvDpT3_.private_seg_size, 0
	.set _Z6kernelI14subtract_rightLj256ELj32ELb1EJPfS1_jEEvDpT3_.uses_vcc, 1
	.set _Z6kernelI14subtract_rightLj256ELj32ELb1EJPfS1_jEEvDpT3_.uses_flat_scratch, 0
	.set _Z6kernelI14subtract_rightLj256ELj32ELb1EJPfS1_jEEvDpT3_.has_dyn_sized_stack, 0
	.set _Z6kernelI14subtract_rightLj256ELj32ELb1EJPfS1_jEEvDpT3_.has_recursion, 0
	.set _Z6kernelI14subtract_rightLj256ELj32ELb1EJPfS1_jEEvDpT3_.has_indirect_call, 0
	.section	.AMDGPU.csdata,"",@progbits
; Kernel info:
; codeLenInByte = 1332
; TotalNumSgprs: 10
; NumVgprs: 65
; ScratchSize: 0
; MemoryBound: 0
; FloatMode: 240
; IeeeMode: 1
; LDSByteSize: 2048 bytes/workgroup (compile time only)
; SGPRBlocks: 0
; VGPRBlocks: 8
; NumSGPRsForWavesPerEU: 10
; NumVGPRsForWavesPerEU: 65
; Occupancy: 16
; WaveLimiterHint : 1
; COMPUTE_PGM_RSRC2:SCRATCH_EN: 0
; COMPUTE_PGM_RSRC2:USER_SGPR: 2
; COMPUTE_PGM_RSRC2:TRAP_HANDLER: 0
; COMPUTE_PGM_RSRC2:TGID_X_EN: 1
; COMPUTE_PGM_RSRC2:TGID_Y_EN: 0
; COMPUTE_PGM_RSRC2:TGID_Z_EN: 0
; COMPUTE_PGM_RSRC2:TIDIG_COMP_CNT: 0
	.section	.text._Z6kernelI14subtract_rightLj256ELj1ELb1EJPaS1_jEEvDpT3_,"axG",@progbits,_Z6kernelI14subtract_rightLj256ELj1ELb1EJPaS1_jEEvDpT3_,comdat
	.protected	_Z6kernelI14subtract_rightLj256ELj1ELb1EJPaS1_jEEvDpT3_ ; -- Begin function _Z6kernelI14subtract_rightLj256ELj1ELb1EJPaS1_jEEvDpT3_
	.globl	_Z6kernelI14subtract_rightLj256ELj1ELb1EJPaS1_jEEvDpT3_
	.p2align	8
	.type	_Z6kernelI14subtract_rightLj256ELj1ELb1EJPaS1_jEEvDpT3_,@function
_Z6kernelI14subtract_rightLj256ELj1ELb1EJPaS1_jEEvDpT3_: ; @_Z6kernelI14subtract_rightLj256ELj1ELb1EJPaS1_jEEvDpT3_
; %bb.0:
	s_load_b128 s[4:7], s[0:1], 0x0
	s_lshl_b32 s2, ttmp9, 8
	s_mov_b32 s3, 0
	s_load_b32 s0, s[0:1], 0x10
	s_wait_kmcnt 0x0
	s_add_nc_u64 s[4:5], s[4:5], s[2:3]
	global_load_u8 v1, v0, s[4:5]
	s_cmp_eq_u32 s0, 0
	s_cbranch_scc1 .LBB102_5
; %bb.1:
	v_cmp_ne_u32_e32 vcc_lo, 0xff, v0
	s_branch .LBB102_3
.LBB102_2:                              ;   in Loop: Header=BB102_3 Depth=1
	s_or_b32 exec_lo, exec_lo, s1
	v_lshlrev_b16 v1, 1, v1
	s_add_co_i32 s0, s0, -1
	s_wait_loadcnt_dscnt 0x0
	s_cmp_lg_u32 s0, 0
	s_barrier_signal -1
	v_sub_nc_u16 v1, v1, v2
	s_barrier_wait -1
	global_inv scope:SCOPE_SE
	s_cbranch_scc0 .LBB102_5
.LBB102_3:                              ; =>This Inner Loop Header: Depth=1
	v_mov_b32_e32 v2, 0x7b
	s_wait_loadcnt 0x0
	ds_store_b8 v0, v1 offset:256
	s_wait_dscnt 0x0
	s_barrier_signal -1
	s_barrier_wait -1
	global_inv scope:SCOPE_SE
	s_and_saveexec_b32 s1, vcc_lo
	s_cbranch_execz .LBB102_2
; %bb.4:                                ;   in Loop: Header=BB102_3 Depth=1
	ds_load_u8 v2, v0 offset:257
	s_branch .LBB102_2
.LBB102_5:
	s_add_nc_u64 s[0:1], s[6:7], s[2:3]
	s_delay_alu instid0(SALU_CYCLE_1)
	v_add_co_u32 v2, s0, s0, v0
	s_wait_alu 0xf1ff
	v_add_co_ci_u32_e64 v3, null, s1, 0, s0
	s_wait_loadcnt 0x0
	global_store_b8 v[2:3], v1, off
	s_endpgm
	.section	.rodata,"a",@progbits
	.p2align	6, 0x0
	.amdhsa_kernel _Z6kernelI14subtract_rightLj256ELj1ELb1EJPaS1_jEEvDpT3_
		.amdhsa_group_segment_fixed_size 512
		.amdhsa_private_segment_fixed_size 0
		.amdhsa_kernarg_size 20
		.amdhsa_user_sgpr_count 2
		.amdhsa_user_sgpr_dispatch_ptr 0
		.amdhsa_user_sgpr_queue_ptr 0
		.amdhsa_user_sgpr_kernarg_segment_ptr 1
		.amdhsa_user_sgpr_dispatch_id 0
		.amdhsa_user_sgpr_private_segment_size 0
		.amdhsa_wavefront_size32 1
		.amdhsa_uses_dynamic_stack 0
		.amdhsa_enable_private_segment 0
		.amdhsa_system_sgpr_workgroup_id_x 1
		.amdhsa_system_sgpr_workgroup_id_y 0
		.amdhsa_system_sgpr_workgroup_id_z 0
		.amdhsa_system_sgpr_workgroup_info 0
		.amdhsa_system_vgpr_workitem_id 0
		.amdhsa_next_free_vgpr 4
		.amdhsa_next_free_sgpr 8
		.amdhsa_reserve_vcc 1
		.amdhsa_float_round_mode_32 0
		.amdhsa_float_round_mode_16_64 0
		.amdhsa_float_denorm_mode_32 3
		.amdhsa_float_denorm_mode_16_64 3
		.amdhsa_fp16_overflow 0
		.amdhsa_workgroup_processor_mode 1
		.amdhsa_memory_ordered 1
		.amdhsa_forward_progress 1
		.amdhsa_inst_pref_size 2
		.amdhsa_round_robin_scheduling 0
		.amdhsa_exception_fp_ieee_invalid_op 0
		.amdhsa_exception_fp_denorm_src 0
		.amdhsa_exception_fp_ieee_div_zero 0
		.amdhsa_exception_fp_ieee_overflow 0
		.amdhsa_exception_fp_ieee_underflow 0
		.amdhsa_exception_fp_ieee_inexact 0
		.amdhsa_exception_int_div_zero 0
	.end_amdhsa_kernel
	.section	.text._Z6kernelI14subtract_rightLj256ELj1ELb1EJPaS1_jEEvDpT3_,"axG",@progbits,_Z6kernelI14subtract_rightLj256ELj1ELb1EJPaS1_jEEvDpT3_,comdat
.Lfunc_end102:
	.size	_Z6kernelI14subtract_rightLj256ELj1ELb1EJPaS1_jEEvDpT3_, .Lfunc_end102-_Z6kernelI14subtract_rightLj256ELj1ELb1EJPaS1_jEEvDpT3_
                                        ; -- End function
	.set _Z6kernelI14subtract_rightLj256ELj1ELb1EJPaS1_jEEvDpT3_.num_vgpr, 4
	.set _Z6kernelI14subtract_rightLj256ELj1ELb1EJPaS1_jEEvDpT3_.num_agpr, 0
	.set _Z6kernelI14subtract_rightLj256ELj1ELb1EJPaS1_jEEvDpT3_.numbered_sgpr, 8
	.set _Z6kernelI14subtract_rightLj256ELj1ELb1EJPaS1_jEEvDpT3_.num_named_barrier, 0
	.set _Z6kernelI14subtract_rightLj256ELj1ELb1EJPaS1_jEEvDpT3_.private_seg_size, 0
	.set _Z6kernelI14subtract_rightLj256ELj1ELb1EJPaS1_jEEvDpT3_.uses_vcc, 1
	.set _Z6kernelI14subtract_rightLj256ELj1ELb1EJPaS1_jEEvDpT3_.uses_flat_scratch, 0
	.set _Z6kernelI14subtract_rightLj256ELj1ELb1EJPaS1_jEEvDpT3_.has_dyn_sized_stack, 0
	.set _Z6kernelI14subtract_rightLj256ELj1ELb1EJPaS1_jEEvDpT3_.has_recursion, 0
	.set _Z6kernelI14subtract_rightLj256ELj1ELb1EJPaS1_jEEvDpT3_.has_indirect_call, 0
	.section	.AMDGPU.csdata,"",@progbits
; Kernel info:
; codeLenInByte = 232
; TotalNumSgprs: 10
; NumVgprs: 4
; ScratchSize: 0
; MemoryBound: 0
; FloatMode: 240
; IeeeMode: 1
; LDSByteSize: 512 bytes/workgroup (compile time only)
; SGPRBlocks: 0
; VGPRBlocks: 0
; NumSGPRsForWavesPerEU: 10
; NumVGPRsForWavesPerEU: 4
; Occupancy: 16
; WaveLimiterHint : 0
; COMPUTE_PGM_RSRC2:SCRATCH_EN: 0
; COMPUTE_PGM_RSRC2:USER_SGPR: 2
; COMPUTE_PGM_RSRC2:TRAP_HANDLER: 0
; COMPUTE_PGM_RSRC2:TGID_X_EN: 1
; COMPUTE_PGM_RSRC2:TGID_Y_EN: 0
; COMPUTE_PGM_RSRC2:TGID_Z_EN: 0
; COMPUTE_PGM_RSRC2:TIDIG_COMP_CNT: 0
	.section	.text._Z6kernelI14subtract_rightLj256ELj3ELb1EJPaS1_jEEvDpT3_,"axG",@progbits,_Z6kernelI14subtract_rightLj256ELj3ELb1EJPaS1_jEEvDpT3_,comdat
	.protected	_Z6kernelI14subtract_rightLj256ELj3ELb1EJPaS1_jEEvDpT3_ ; -- Begin function _Z6kernelI14subtract_rightLj256ELj3ELb1EJPaS1_jEEvDpT3_
	.globl	_Z6kernelI14subtract_rightLj256ELj3ELb1EJPaS1_jEEvDpT3_
	.p2align	8
	.type	_Z6kernelI14subtract_rightLj256ELj3ELb1EJPaS1_jEEvDpT3_,@function
_Z6kernelI14subtract_rightLj256ELj3ELb1EJPaS1_jEEvDpT3_: ; @_Z6kernelI14subtract_rightLj256ELj3ELb1EJPaS1_jEEvDpT3_
; %bb.0:
	s_load_b128 s[4:7], s[0:1], 0x0
	s_mul_i32 s2, ttmp9, 0x300
	s_mov_b32 s3, 0
	s_load_b32 s0, s[0:1], 0x10
	s_wait_kmcnt 0x0
	s_add_nc_u64 s[4:5], s[4:5], s[2:3]
	s_clause 0x2
	global_load_u8 v1, v0, s[4:5] offset:256
	global_load_u8 v2, v0, s[4:5] offset:512
	global_load_u8 v3, v0, s[4:5]
	s_cmp_eq_u32 s0, 0
	s_wait_loadcnt 0x0
	v_perm_b32 v1, v3, v1, 0xc0c0004
	s_delay_alu instid0(VALU_DEP_1)
	v_lshl_or_b32 v1, v2, 16, v1
	s_cbranch_scc1 .LBB103_5
; %bb.1:
	v_cmp_ne_u32_e32 vcc_lo, 0xff, v0
	s_branch .LBB103_3
.LBB103_2:                              ;   in Loop: Header=BB103_3 Depth=1
	s_or_b32 exec_lo, exec_lo, s1
	v_lshrrev_b32_e32 v3, 8, v1
	v_lshrrev_b32_e32 v4, 16, v1
	v_lshlrev_b16 v1, 1, v1
	s_add_co_i32 s0, s0, -1
	s_wait_loadcnt_dscnt 0x0
	v_lshlrev_b16 v5, 1, v3
	v_lshlrev_b16 v6, 1, v4
	v_sub_nc_u16 v1, v1, v3
	s_cmp_lg_u32 s0, 0
	s_barrier_signal -1
	v_sub_nc_u16 v3, v5, v4
	v_sub_nc_u16 v2, v6, v2
	v_and_b32_e32 v1, 0xff, v1
	s_barrier_wait -1
	global_inv scope:SCOPE_SE
	v_lshlrev_b16 v3, 8, v3
	v_and_b32_e32 v2, 0xff, v2
	s_delay_alu instid0(VALU_DEP_2) | instskip(NEXT) | instid1(VALU_DEP_2)
	v_or_b32_e32 v1, v1, v3
	v_lshlrev_b32_e32 v2, 16, v2
	s_delay_alu instid0(VALU_DEP_2) | instskip(NEXT) | instid1(VALU_DEP_1)
	v_and_b32_e32 v1, 0xffff, v1
	v_or_b32_e32 v1, v1, v2
	s_cbranch_scc0 .LBB103_5
.LBB103_3:                              ; =>This Inner Loop Header: Depth=1
	v_mov_b32_e32 v2, 0x7b
	ds_store_b8 v0, v1 offset:256
	s_wait_dscnt 0x0
	s_barrier_signal -1
	s_barrier_wait -1
	global_inv scope:SCOPE_SE
	s_and_saveexec_b32 s1, vcc_lo
	s_cbranch_execz .LBB103_2
; %bb.4:                                ;   in Loop: Header=BB103_3 Depth=1
	ds_load_u8 v2, v0 offset:257
	s_branch .LBB103_2
.LBB103_5:
	s_add_nc_u64 s[0:1], s[6:7], s[2:3]
	s_delay_alu instid0(SALU_CYCLE_1)
	v_add_co_u32 v2, s0, s0, v0
	s_wait_alu 0xf1ff
	v_add_co_ci_u32_e64 v3, null, s1, 0, s0
	v_lshrrev_b32_e32 v0, 8, v1
	s_clause 0x2
	global_store_b8 v[2:3], v1, off
	global_store_b8 v[2:3], v0, off offset:256
	global_store_d16_hi_b8 v[2:3], v1, off offset:512
	s_endpgm
	.section	.rodata,"a",@progbits
	.p2align	6, 0x0
	.amdhsa_kernel _Z6kernelI14subtract_rightLj256ELj3ELb1EJPaS1_jEEvDpT3_
		.amdhsa_group_segment_fixed_size 512
		.amdhsa_private_segment_fixed_size 0
		.amdhsa_kernarg_size 20
		.amdhsa_user_sgpr_count 2
		.amdhsa_user_sgpr_dispatch_ptr 0
		.amdhsa_user_sgpr_queue_ptr 0
		.amdhsa_user_sgpr_kernarg_segment_ptr 1
		.amdhsa_user_sgpr_dispatch_id 0
		.amdhsa_user_sgpr_private_segment_size 0
		.amdhsa_wavefront_size32 1
		.amdhsa_uses_dynamic_stack 0
		.amdhsa_enable_private_segment 0
		.amdhsa_system_sgpr_workgroup_id_x 1
		.amdhsa_system_sgpr_workgroup_id_y 0
		.amdhsa_system_sgpr_workgroup_id_z 0
		.amdhsa_system_sgpr_workgroup_info 0
		.amdhsa_system_vgpr_workitem_id 0
		.amdhsa_next_free_vgpr 7
		.amdhsa_next_free_sgpr 8
		.amdhsa_reserve_vcc 1
		.amdhsa_float_round_mode_32 0
		.amdhsa_float_round_mode_16_64 0
		.amdhsa_float_denorm_mode_32 3
		.amdhsa_float_denorm_mode_16_64 3
		.amdhsa_fp16_overflow 0
		.amdhsa_workgroup_processor_mode 1
		.amdhsa_memory_ordered 1
		.amdhsa_forward_progress 1
		.amdhsa_inst_pref_size 4
		.amdhsa_round_robin_scheduling 0
		.amdhsa_exception_fp_ieee_invalid_op 0
		.amdhsa_exception_fp_denorm_src 0
		.amdhsa_exception_fp_ieee_div_zero 0
		.amdhsa_exception_fp_ieee_overflow 0
		.amdhsa_exception_fp_ieee_underflow 0
		.amdhsa_exception_fp_ieee_inexact 0
		.amdhsa_exception_int_div_zero 0
	.end_amdhsa_kernel
	.section	.text._Z6kernelI14subtract_rightLj256ELj3ELb1EJPaS1_jEEvDpT3_,"axG",@progbits,_Z6kernelI14subtract_rightLj256ELj3ELb1EJPaS1_jEEvDpT3_,comdat
.Lfunc_end103:
	.size	_Z6kernelI14subtract_rightLj256ELj3ELb1EJPaS1_jEEvDpT3_, .Lfunc_end103-_Z6kernelI14subtract_rightLj256ELj3ELb1EJPaS1_jEEvDpT3_
                                        ; -- End function
	.set _Z6kernelI14subtract_rightLj256ELj3ELb1EJPaS1_jEEvDpT3_.num_vgpr, 7
	.set _Z6kernelI14subtract_rightLj256ELj3ELb1EJPaS1_jEEvDpT3_.num_agpr, 0
	.set _Z6kernelI14subtract_rightLj256ELj3ELb1EJPaS1_jEEvDpT3_.numbered_sgpr, 8
	.set _Z6kernelI14subtract_rightLj256ELj3ELb1EJPaS1_jEEvDpT3_.num_named_barrier, 0
	.set _Z6kernelI14subtract_rightLj256ELj3ELb1EJPaS1_jEEvDpT3_.private_seg_size, 0
	.set _Z6kernelI14subtract_rightLj256ELj3ELb1EJPaS1_jEEvDpT3_.uses_vcc, 1
	.set _Z6kernelI14subtract_rightLj256ELj3ELb1EJPaS1_jEEvDpT3_.uses_flat_scratch, 0
	.set _Z6kernelI14subtract_rightLj256ELj3ELb1EJPaS1_jEEvDpT3_.has_dyn_sized_stack, 0
	.set _Z6kernelI14subtract_rightLj256ELj3ELb1EJPaS1_jEEvDpT3_.has_recursion, 0
	.set _Z6kernelI14subtract_rightLj256ELj3ELb1EJPaS1_jEEvDpT3_.has_indirect_call, 0
	.section	.AMDGPU.csdata,"",@progbits
; Kernel info:
; codeLenInByte = 408
; TotalNumSgprs: 10
; NumVgprs: 7
; ScratchSize: 0
; MemoryBound: 0
; FloatMode: 240
; IeeeMode: 1
; LDSByteSize: 512 bytes/workgroup (compile time only)
; SGPRBlocks: 0
; VGPRBlocks: 0
; NumSGPRsForWavesPerEU: 10
; NumVGPRsForWavesPerEU: 7
; Occupancy: 16
; WaveLimiterHint : 1
; COMPUTE_PGM_RSRC2:SCRATCH_EN: 0
; COMPUTE_PGM_RSRC2:USER_SGPR: 2
; COMPUTE_PGM_RSRC2:TRAP_HANDLER: 0
; COMPUTE_PGM_RSRC2:TGID_X_EN: 1
; COMPUTE_PGM_RSRC2:TGID_Y_EN: 0
; COMPUTE_PGM_RSRC2:TGID_Z_EN: 0
; COMPUTE_PGM_RSRC2:TIDIG_COMP_CNT: 0
	.section	.text._Z6kernelI14subtract_rightLj256ELj4ELb1EJPaS1_jEEvDpT3_,"axG",@progbits,_Z6kernelI14subtract_rightLj256ELj4ELb1EJPaS1_jEEvDpT3_,comdat
	.protected	_Z6kernelI14subtract_rightLj256ELj4ELb1EJPaS1_jEEvDpT3_ ; -- Begin function _Z6kernelI14subtract_rightLj256ELj4ELb1EJPaS1_jEEvDpT3_
	.globl	_Z6kernelI14subtract_rightLj256ELj4ELb1EJPaS1_jEEvDpT3_
	.p2align	8
	.type	_Z6kernelI14subtract_rightLj256ELj4ELb1EJPaS1_jEEvDpT3_,@function
_Z6kernelI14subtract_rightLj256ELj4ELb1EJPaS1_jEEvDpT3_: ; @_Z6kernelI14subtract_rightLj256ELj4ELb1EJPaS1_jEEvDpT3_
; %bb.0:
	s_load_b128 s[4:7], s[0:1], 0x0
	s_lshl_b32 s2, ttmp9, 10
	s_mov_b32 s3, 0
	s_load_b32 s0, s[0:1], 0x10
	s_wait_kmcnt 0x0
	s_add_nc_u64 s[4:5], s[4:5], s[2:3]
	s_clause 0x3
	global_load_u8 v1, v0, s[4:5] offset:256
	global_load_u8 v2, v0, s[4:5] offset:512
	global_load_u8 v3, v0, s[4:5]
	global_load_u8 v4, v0, s[4:5] offset:768
	s_cmp_eq_u32 s0, 0
	s_wait_loadcnt 0x1
	v_perm_b32 v1, v3, v1, 0xc0c0004
	s_wait_loadcnt 0x0
	v_perm_b32 v2, v2, v4, 0xc0c0004
	s_delay_alu instid0(VALU_DEP_1)
	v_lshl_or_b32 v1, v2, 16, v1
	s_cbranch_scc1 .LBB104_5
; %bb.1:
	v_cmp_ne_u32_e32 vcc_lo, 0xff, v0
	s_branch .LBB104_3
.LBB104_2:                              ;   in Loop: Header=BB104_3 Depth=1
	s_or_b32 exec_lo, exec_lo, s1
	v_lshrrev_b16 v3, 8, v1
	v_lshrrev_b32_e32 v4, 16, v1
	v_lshrrev_b32_e32 v5, 24, v1
	v_lshlrev_b16 v1, 1, v1
	s_add_co_i32 s0, s0, -1
	v_lshlrev_b16 v6, 1, v3
	v_lshlrev_b16 v7, 1, v4
	;; [unrolled: 1-line block ×3, first 2 shown]
	v_sub_nc_u16 v1, v1, v3
	s_cmp_lg_u32 s0, 0
	v_sub_nc_u16 v3, v6, v4
	v_sub_nc_u16 v4, v7, v5
	s_wait_dscnt 0x0
	v_sub_nc_u16 v2, v8, v2
	v_and_b32_e32 v1, 0xff, v1
	s_wait_loadcnt 0x0
	v_lshlrev_b16 v3, 8, v3
	v_and_b32_e32 v4, 0xff, v4
	v_lshlrev_b16 v2, 8, v2
	s_barrier_signal -1
	s_barrier_wait -1
	v_or_b32_e32 v1, v1, v3
	global_inv scope:SCOPE_SE
	v_or_b32_e32 v2, v4, v2
	v_and_b32_e32 v1, 0xffff, v1
	s_delay_alu instid0(VALU_DEP_2) | instskip(NEXT) | instid1(VALU_DEP_1)
	v_lshlrev_b32_e32 v2, 16, v2
	v_or_b32_e32 v1, v1, v2
	s_cbranch_scc0 .LBB104_5
.LBB104_3:                              ; =>This Inner Loop Header: Depth=1
	v_mov_b32_e32 v2, 0x7b
	ds_store_b8 v0, v1 offset:256
	s_wait_dscnt 0x0
	s_barrier_signal -1
	s_barrier_wait -1
	global_inv scope:SCOPE_SE
	s_and_saveexec_b32 s1, vcc_lo
	s_cbranch_execz .LBB104_2
; %bb.4:                                ;   in Loop: Header=BB104_3 Depth=1
	ds_load_u8 v2, v0 offset:257
	s_branch .LBB104_2
.LBB104_5:
	s_add_nc_u64 s[0:1], s[6:7], s[2:3]
	s_delay_alu instid0(VALU_DEP_1)
	v_lshrrev_b32_e32 v4, 24, v1
	v_add_co_u32 v2, s0, s0, v0
	s_wait_alu 0xf1ff
	v_add_co_ci_u32_e64 v3, null, s1, 0, s0
	v_lshrrev_b32_e32 v0, 8, v1
	s_clause 0x3
	global_store_b8 v[2:3], v1, off
	global_store_b8 v[2:3], v0, off offset:256
	global_store_d16_hi_b8 v[2:3], v1, off offset:512
	global_store_b8 v[2:3], v4, off offset:768
	s_endpgm
	.section	.rodata,"a",@progbits
	.p2align	6, 0x0
	.amdhsa_kernel _Z6kernelI14subtract_rightLj256ELj4ELb1EJPaS1_jEEvDpT3_
		.amdhsa_group_segment_fixed_size 512
		.amdhsa_private_segment_fixed_size 0
		.amdhsa_kernarg_size 20
		.amdhsa_user_sgpr_count 2
		.amdhsa_user_sgpr_dispatch_ptr 0
		.amdhsa_user_sgpr_queue_ptr 0
		.amdhsa_user_sgpr_kernarg_segment_ptr 1
		.amdhsa_user_sgpr_dispatch_id 0
		.amdhsa_user_sgpr_private_segment_size 0
		.amdhsa_wavefront_size32 1
		.amdhsa_uses_dynamic_stack 0
		.amdhsa_enable_private_segment 0
		.amdhsa_system_sgpr_workgroup_id_x 1
		.amdhsa_system_sgpr_workgroup_id_y 0
		.amdhsa_system_sgpr_workgroup_id_z 0
		.amdhsa_system_sgpr_workgroup_info 0
		.amdhsa_system_vgpr_workitem_id 0
		.amdhsa_next_free_vgpr 9
		.amdhsa_next_free_sgpr 8
		.amdhsa_reserve_vcc 1
		.amdhsa_float_round_mode_32 0
		.amdhsa_float_round_mode_16_64 0
		.amdhsa_float_denorm_mode_32 3
		.amdhsa_float_denorm_mode_16_64 3
		.amdhsa_fp16_overflow 0
		.amdhsa_workgroup_processor_mode 1
		.amdhsa_memory_ordered 1
		.amdhsa_forward_progress 1
		.amdhsa_inst_pref_size 4
		.amdhsa_round_robin_scheduling 0
		.amdhsa_exception_fp_ieee_invalid_op 0
		.amdhsa_exception_fp_denorm_src 0
		.amdhsa_exception_fp_ieee_div_zero 0
		.amdhsa_exception_fp_ieee_overflow 0
		.amdhsa_exception_fp_ieee_underflow 0
		.amdhsa_exception_fp_ieee_inexact 0
		.amdhsa_exception_int_div_zero 0
	.end_amdhsa_kernel
	.section	.text._Z6kernelI14subtract_rightLj256ELj4ELb1EJPaS1_jEEvDpT3_,"axG",@progbits,_Z6kernelI14subtract_rightLj256ELj4ELb1EJPaS1_jEEvDpT3_,comdat
.Lfunc_end104:
	.size	_Z6kernelI14subtract_rightLj256ELj4ELb1EJPaS1_jEEvDpT3_, .Lfunc_end104-_Z6kernelI14subtract_rightLj256ELj4ELb1EJPaS1_jEEvDpT3_
                                        ; -- End function
	.set _Z6kernelI14subtract_rightLj256ELj4ELb1EJPaS1_jEEvDpT3_.num_vgpr, 9
	.set _Z6kernelI14subtract_rightLj256ELj4ELb1EJPaS1_jEEvDpT3_.num_agpr, 0
	.set _Z6kernelI14subtract_rightLj256ELj4ELb1EJPaS1_jEEvDpT3_.numbered_sgpr, 8
	.set _Z6kernelI14subtract_rightLj256ELj4ELb1EJPaS1_jEEvDpT3_.num_named_barrier, 0
	.set _Z6kernelI14subtract_rightLj256ELj4ELb1EJPaS1_jEEvDpT3_.private_seg_size, 0
	.set _Z6kernelI14subtract_rightLj256ELj4ELb1EJPaS1_jEEvDpT3_.uses_vcc, 1
	.set _Z6kernelI14subtract_rightLj256ELj4ELb1EJPaS1_jEEvDpT3_.uses_flat_scratch, 0
	.set _Z6kernelI14subtract_rightLj256ELj4ELb1EJPaS1_jEEvDpT3_.has_dyn_sized_stack, 0
	.set _Z6kernelI14subtract_rightLj256ELj4ELb1EJPaS1_jEEvDpT3_.has_recursion, 0
	.set _Z6kernelI14subtract_rightLj256ELj4ELb1EJPaS1_jEEvDpT3_.has_indirect_call, 0
	.section	.AMDGPU.csdata,"",@progbits
; Kernel info:
; codeLenInByte = 484
; TotalNumSgprs: 10
; NumVgprs: 9
; ScratchSize: 0
; MemoryBound: 0
; FloatMode: 240
; IeeeMode: 1
; LDSByteSize: 512 bytes/workgroup (compile time only)
; SGPRBlocks: 0
; VGPRBlocks: 1
; NumSGPRsForWavesPerEU: 10
; NumVGPRsForWavesPerEU: 9
; Occupancy: 16
; WaveLimiterHint : 1
; COMPUTE_PGM_RSRC2:SCRATCH_EN: 0
; COMPUTE_PGM_RSRC2:USER_SGPR: 2
; COMPUTE_PGM_RSRC2:TRAP_HANDLER: 0
; COMPUTE_PGM_RSRC2:TGID_X_EN: 1
; COMPUTE_PGM_RSRC2:TGID_Y_EN: 0
; COMPUTE_PGM_RSRC2:TGID_Z_EN: 0
; COMPUTE_PGM_RSRC2:TIDIG_COMP_CNT: 0
	.section	.text._Z6kernelI14subtract_rightLj256ELj8ELb1EJPaS1_jEEvDpT3_,"axG",@progbits,_Z6kernelI14subtract_rightLj256ELj8ELb1EJPaS1_jEEvDpT3_,comdat
	.protected	_Z6kernelI14subtract_rightLj256ELj8ELb1EJPaS1_jEEvDpT3_ ; -- Begin function _Z6kernelI14subtract_rightLj256ELj8ELb1EJPaS1_jEEvDpT3_
	.globl	_Z6kernelI14subtract_rightLj256ELj8ELb1EJPaS1_jEEvDpT3_
	.p2align	8
	.type	_Z6kernelI14subtract_rightLj256ELj8ELb1EJPaS1_jEEvDpT3_,@function
_Z6kernelI14subtract_rightLj256ELj8ELb1EJPaS1_jEEvDpT3_: ; @_Z6kernelI14subtract_rightLj256ELj8ELb1EJPaS1_jEEvDpT3_
; %bb.0:
	s_load_b128 s[4:7], s[0:1], 0x0
	s_lshl_b32 s2, ttmp9, 11
	s_mov_b32 s3, 0
	s_load_b32 s0, s[0:1], 0x10
	s_wait_kmcnt 0x0
	s_add_nc_u64 s[4:5], s[4:5], s[2:3]
	s_clause 0x7
	global_load_u8 v1, v0, s[4:5] offset:256
	global_load_u8 v2, v0, s[4:5] offset:1536
	;; [unrolled: 1-line block ×4, first 2 shown]
	global_load_u8 v5, v0, s[4:5]
	global_load_u8 v6, v0, s[4:5] offset:768
	global_load_u8 v7, v0, s[4:5] offset:1280
	;; [unrolled: 1-line block ×3, first 2 shown]
	s_cmp_eq_u32 s0, 0
	s_wait_loadcnt 0x3
	v_perm_b32 v1, v5, v1, 0xc0c0004
	s_wait_loadcnt 0x2
	v_perm_b32 v4, v4, v6, 0xc0c0004
	;; [unrolled: 2-line block ×4, first 2 shown]
	v_lshl_or_b32 v1, v4, 16, v1
	s_delay_alu instid0(VALU_DEP_2)
	v_lshl_or_b32 v2, v2, 16, v3
	s_cbranch_scc1 .LBB105_5
; %bb.1:
	v_cmp_ne_u32_e32 vcc_lo, 0xff, v0
	s_branch .LBB105_3
.LBB105_2:                              ;   in Loop: Header=BB105_3 Depth=1
	s_or_b32 exec_lo, exec_lo, s1
	v_lshrrev_b32_e32 v6, 8, v1
	v_lshrrev_b64 v[4:5], 24, v[1:2]
	v_lshrrev_b32_e32 v7, 16, v1
	v_lshlrev_b16 v1, 1, v1
	v_lshrrev_b32_e32 v9, 8, v2
	v_lshlrev_b16 v5, 1, v6
	;; [unrolled: 2-line block ×3, first 2 shown]
	v_sub_nc_u16 v1, v1, v6
	v_lshlrev_b16 v11, 1, v9
	v_sub_nc_u16 v5, v5, v7
	v_lshrrev_b32_e32 v7, 24, v2
	v_sub_nc_u16 v6, v8, v4
	v_lshlrev_b16 v4, 1, v4
	v_lshlrev_b16 v8, 1, v2
	;; [unrolled: 1-line block ×4, first 2 shown]
	v_and_b32_e32 v1, 0xff, v1
	v_sub_nc_u16 v2, v4, v2
	v_sub_nc_u16 v4, v8, v9
	;; [unrolled: 1-line block ×4, first 2 shown]
	s_wait_dscnt 0x0
	v_sub_nc_u16 v3, v13, v3
	v_lshlrev_b16 v5, 8, v5
	v_and_b32_e32 v6, 0xff, v6
	v_lshlrev_b16 v2, 8, v2
	v_and_b32_e32 v4, 0xff, v4
	v_lshlrev_b16 v8, 8, v8
	v_and_b32_e32 v7, 0xff, v7
	v_lshlrev_b16 v3, 8, v3
	v_or_b32_e32 v1, v1, v5
	v_or_b32_e32 v2, v6, v2
	;; [unrolled: 1-line block ×3, first 2 shown]
	s_add_co_i32 s0, s0, -1
	v_or_b32_e32 v3, v7, v3
	v_and_b32_e32 v1, 0xffff, v1
	v_lshlrev_b32_e32 v2, 16, v2
	v_and_b32_e32 v4, 0xffff, v4
	s_cmp_lg_u32 s0, 0
	v_lshlrev_b32_e32 v3, 16, v3
	s_wait_loadcnt 0x0
	v_or_b32_e32 v1, v1, v2
	s_barrier_signal -1
	s_barrier_wait -1
	v_or_b32_e32 v2, v4, v3
	global_inv scope:SCOPE_SE
	s_cbranch_scc0 .LBB105_5
.LBB105_3:                              ; =>This Inner Loop Header: Depth=1
	v_mov_b32_e32 v3, 0x7b
	ds_store_b8 v0, v1 offset:256
	s_wait_dscnt 0x0
	s_barrier_signal -1
	s_barrier_wait -1
	global_inv scope:SCOPE_SE
	s_and_saveexec_b32 s1, vcc_lo
	s_cbranch_execz .LBB105_2
; %bb.4:                                ;   in Loop: Header=BB105_3 Depth=1
	ds_load_u8 v3, v0 offset:257
	s_branch .LBB105_2
.LBB105_5:
	s_add_nc_u64 s[0:1], s[6:7], s[2:3]
	s_delay_alu instid0(VALU_DEP_2)
	v_lshrrev_b32_e32 v5, 24, v1
	v_add_co_u32 v3, s0, s0, v0
	s_wait_alu 0xf1ff
	v_add_co_ci_u32_e64 v4, null, s1, 0, s0
	v_lshrrev_b32_e32 v0, 8, v1
	v_lshrrev_b32_e32 v6, 8, v2
	;; [unrolled: 1-line block ×3, first 2 shown]
	s_clause 0x7
	global_store_b8 v[3:4], v1, off
	global_store_b8 v[3:4], v0, off offset:256
	global_store_d16_hi_b8 v[3:4], v1, off offset:512
	global_store_b8 v[3:4], v5, off offset:768
	global_store_b8 v[3:4], v2, off offset:1024
	;; [unrolled: 1-line block ×3, first 2 shown]
	global_store_d16_hi_b8 v[3:4], v2, off offset:1536
	global_store_b8 v[3:4], v7, off offset:1792
	s_endpgm
	.section	.rodata,"a",@progbits
	.p2align	6, 0x0
	.amdhsa_kernel _Z6kernelI14subtract_rightLj256ELj8ELb1EJPaS1_jEEvDpT3_
		.amdhsa_group_segment_fixed_size 512
		.amdhsa_private_segment_fixed_size 0
		.amdhsa_kernarg_size 20
		.amdhsa_user_sgpr_count 2
		.amdhsa_user_sgpr_dispatch_ptr 0
		.amdhsa_user_sgpr_queue_ptr 0
		.amdhsa_user_sgpr_kernarg_segment_ptr 1
		.amdhsa_user_sgpr_dispatch_id 0
		.amdhsa_user_sgpr_private_segment_size 0
		.amdhsa_wavefront_size32 1
		.amdhsa_uses_dynamic_stack 0
		.amdhsa_enable_private_segment 0
		.amdhsa_system_sgpr_workgroup_id_x 1
		.amdhsa_system_sgpr_workgroup_id_y 0
		.amdhsa_system_sgpr_workgroup_id_z 0
		.amdhsa_system_sgpr_workgroup_info 0
		.amdhsa_system_vgpr_workitem_id 0
		.amdhsa_next_free_vgpr 14
		.amdhsa_next_free_sgpr 8
		.amdhsa_reserve_vcc 1
		.amdhsa_float_round_mode_32 0
		.amdhsa_float_round_mode_16_64 0
		.amdhsa_float_denorm_mode_32 3
		.amdhsa_float_denorm_mode_16_64 3
		.amdhsa_fp16_overflow 0
		.amdhsa_workgroup_processor_mode 1
		.amdhsa_memory_ordered 1
		.amdhsa_forward_progress 1
		.amdhsa_inst_pref_size 6
		.amdhsa_round_robin_scheduling 0
		.amdhsa_exception_fp_ieee_invalid_op 0
		.amdhsa_exception_fp_denorm_src 0
		.amdhsa_exception_fp_ieee_div_zero 0
		.amdhsa_exception_fp_ieee_overflow 0
		.amdhsa_exception_fp_ieee_underflow 0
		.amdhsa_exception_fp_ieee_inexact 0
		.amdhsa_exception_int_div_zero 0
	.end_amdhsa_kernel
	.section	.text._Z6kernelI14subtract_rightLj256ELj8ELb1EJPaS1_jEEvDpT3_,"axG",@progbits,_Z6kernelI14subtract_rightLj256ELj8ELb1EJPaS1_jEEvDpT3_,comdat
.Lfunc_end105:
	.size	_Z6kernelI14subtract_rightLj256ELj8ELb1EJPaS1_jEEvDpT3_, .Lfunc_end105-_Z6kernelI14subtract_rightLj256ELj8ELb1EJPaS1_jEEvDpT3_
                                        ; -- End function
	.set _Z6kernelI14subtract_rightLj256ELj8ELb1EJPaS1_jEEvDpT3_.num_vgpr, 14
	.set _Z6kernelI14subtract_rightLj256ELj8ELb1EJPaS1_jEEvDpT3_.num_agpr, 0
	.set _Z6kernelI14subtract_rightLj256ELj8ELb1EJPaS1_jEEvDpT3_.numbered_sgpr, 8
	.set _Z6kernelI14subtract_rightLj256ELj8ELb1EJPaS1_jEEvDpT3_.num_named_barrier, 0
	.set _Z6kernelI14subtract_rightLj256ELj8ELb1EJPaS1_jEEvDpT3_.private_seg_size, 0
	.set _Z6kernelI14subtract_rightLj256ELj8ELb1EJPaS1_jEEvDpT3_.uses_vcc, 1
	.set _Z6kernelI14subtract_rightLj256ELj8ELb1EJPaS1_jEEvDpT3_.uses_flat_scratch, 0
	.set _Z6kernelI14subtract_rightLj256ELj8ELb1EJPaS1_jEEvDpT3_.has_dyn_sized_stack, 0
	.set _Z6kernelI14subtract_rightLj256ELj8ELb1EJPaS1_jEEvDpT3_.has_recursion, 0
	.set _Z6kernelI14subtract_rightLj256ELj8ELb1EJPaS1_jEEvDpT3_.has_indirect_call, 0
	.section	.AMDGPU.csdata,"",@progbits
; Kernel info:
; codeLenInByte = 756
; TotalNumSgprs: 10
; NumVgprs: 14
; ScratchSize: 0
; MemoryBound: 0
; FloatMode: 240
; IeeeMode: 1
; LDSByteSize: 512 bytes/workgroup (compile time only)
; SGPRBlocks: 0
; VGPRBlocks: 1
; NumSGPRsForWavesPerEU: 10
; NumVGPRsForWavesPerEU: 14
; Occupancy: 16
; WaveLimiterHint : 1
; COMPUTE_PGM_RSRC2:SCRATCH_EN: 0
; COMPUTE_PGM_RSRC2:USER_SGPR: 2
; COMPUTE_PGM_RSRC2:TRAP_HANDLER: 0
; COMPUTE_PGM_RSRC2:TGID_X_EN: 1
; COMPUTE_PGM_RSRC2:TGID_Y_EN: 0
; COMPUTE_PGM_RSRC2:TGID_Z_EN: 0
; COMPUTE_PGM_RSRC2:TIDIG_COMP_CNT: 0
	.section	.text._Z6kernelI14subtract_rightLj256ELj16ELb1EJPaS1_jEEvDpT3_,"axG",@progbits,_Z6kernelI14subtract_rightLj256ELj16ELb1EJPaS1_jEEvDpT3_,comdat
	.protected	_Z6kernelI14subtract_rightLj256ELj16ELb1EJPaS1_jEEvDpT3_ ; -- Begin function _Z6kernelI14subtract_rightLj256ELj16ELb1EJPaS1_jEEvDpT3_
	.globl	_Z6kernelI14subtract_rightLj256ELj16ELb1EJPaS1_jEEvDpT3_
	.p2align	8
	.type	_Z6kernelI14subtract_rightLj256ELj16ELb1EJPaS1_jEEvDpT3_,@function
_Z6kernelI14subtract_rightLj256ELj16ELb1EJPaS1_jEEvDpT3_: ; @_Z6kernelI14subtract_rightLj256ELj16ELb1EJPaS1_jEEvDpT3_
; %bb.0:
	s_load_b128 s[4:7], s[0:1], 0x0
	s_lshl_b32 s2, ttmp9, 12
	s_mov_b32 s3, 0
	s_load_b32 s0, s[0:1], 0x10
	s_wait_kmcnt 0x0
	s_add_nc_u64 s[4:5], s[4:5], s[2:3]
	s_clause 0xf
	global_load_u8 v1, v0, s[4:5] offset:256
	global_load_u8 v2, v0, s[4:5] offset:768
	;; [unrolled: 1-line block ×7, first 2 shown]
	global_load_u8 v8, v0, s[4:5]
	global_load_u8 v9, v0, s[4:5] offset:2304
	global_load_u8 v10, v0, s[4:5] offset:3584
	;; [unrolled: 1-line block ×8, first 2 shown]
	s_cmp_eq_u32 s0, 0
	s_wait_loadcnt 0xb
	v_perm_b32 v4, v5, v4, 0xc0c0004
	s_wait_loadcnt 0xa
	v_perm_b32 v6, v6, v3, 0xc0c0004
	;; [unrolled: 2-line block ×4, first 2 shown]
	v_lshl_or_b32 v4, v4, 16, v6
	s_wait_loadcnt 0x3
	v_perm_b32 v5, v13, v9, 0xc0c0004
	s_wait_loadcnt 0x2
	v_perm_b32 v7, v12, v14, 0xc0c0004
	;; [unrolled: 2-line block ×4, first 2 shown]
	v_lshl_or_b32 v3, v2, 16, v1
	v_lshl_or_b32 v1, v7, 16, v5
	s_delay_alu instid0(VALU_DEP_3)
	v_lshl_or_b32 v2, v9, 16, v8
	s_cbranch_scc1 .LBB106_5
; %bb.1:
	v_cmp_ne_u32_e32 vcc_lo, 0xff, v0
	s_branch .LBB106_3
.LBB106_2:                              ;   in Loop: Header=BB106_3 Depth=1
	s_or_b32 exec_lo, exec_lo, s1
	v_lshrrev_b32_e32 v12, 8, v3
	v_lshlrev_b16 v13, 1, v3
	v_lshrrev_b64 v[6:7], 24, v[3:4]
	v_lshrrev_b32_e32 v10, 8, v4
	v_lshrrev_b32_e32 v3, 16, v3
	;; [unrolled: 1-line block ×3, first 2 shown]
	v_sub_nc_u16 v13, v13, v12
	v_lshlrev_b16 v12, 1, v12
	v_lshlrev_b16 v16, 1, v6
	;; [unrolled: 1-line block ×5, first 2 shown]
	v_sub_nc_u16 v3, v12, v3
	v_sub_nc_u16 v12, v16, v4
	;; [unrolled: 1-line block ×4, first 2 shown]
	v_and_b32_e32 v13, 0xff, v13
	v_lshlrev_b16 v3, 8, v3
	v_sub_nc_u16 v6, v17, v6
	v_and_b32_e32 v10, 0xff, v10
	v_lshlrev_b16 v16, 8, v16
	v_lshrrev_b32_e32 v17, 24, v4
	v_or_b32_e32 v13, v13, v3
	v_lshrrev_b64 v[3:4], 24, v[1:2]
	v_lshrrev_b32_e32 v14, 16, v1
	v_lshrrev_b32_e32 v15, 8, v1
	v_and_b32_e32 v6, 0xff, v6
	v_lshlrev_b16 v12, 8, v12
	v_or_b32_e32 v4, v10, v16
	v_lshlrev_b16 v10, 1, v11
	v_lshrrev_b32_e32 v8, 8, v2
	v_lshrrev_b32_e32 v9, 16, v2
	;; [unrolled: 1-line block ×3, first 2 shown]
	v_or_b32_e32 v6, v6, v12
	v_and_b32_e32 v11, 0xffff, v13
	v_lshlrev_b16 v12, 1, v17
	v_sub_nc_u16 v10, v10, v17
	v_lshlrev_b16 v13, 1, v1
	v_lshlrev_b16 v16, 1, v15
	;; [unrolled: 1-line block ×3, first 2 shown]
	v_sub_nc_u16 v1, v12, v1
	v_lshlrev_b16 v18, 1, v7
	v_sub_nc_u16 v12, v13, v15
	v_sub_nc_u16 v13, v16, v14
	;; [unrolled: 1-line block ×3, first 2 shown]
	v_lshlrev_b16 v3, 1, v3
	v_lshlrev_b16 v15, 1, v2
	;; [unrolled: 1-line block ×4, first 2 shown]
	s_wait_dscnt 0x0
	v_sub_nc_u16 v5, v18, v5
	v_sub_nc_u16 v2, v3, v2
	;; [unrolled: 1-line block ×5, first 2 shown]
	v_and_b32_e32 v10, 0xff, v10
	v_lshlrev_b16 v1, 8, v1
	v_and_b32_e32 v12, 0xff, v12
	v_lshlrev_b16 v13, 8, v13
	;; [unrolled: 2-line block ×5, first 2 shown]
	v_or_b32_e32 v1, v10, v1
	v_or_b32_e32 v9, v12, v13
	;; [unrolled: 1-line block ×5, first 2 shown]
	v_lshlrev_b32_e32 v6, 16, v6
	v_and_b32_e32 v4, 0xffff, v4
	v_lshlrev_b32_e32 v1, 16, v1
	v_and_b32_e32 v7, 0xffff, v9
	;; [unrolled: 2-line block ×3, first 2 shown]
	v_lshlrev_b32_e32 v5, 16, v5
	v_or_b32_e32 v3, v11, v6
	v_or_b32_e32 v4, v4, v1
	;; [unrolled: 1-line block ×3, first 2 shown]
	s_add_co_i32 s0, s0, -1
	v_or_b32_e32 v2, v8, v5
	s_cmp_lg_u32 s0, 0
	s_wait_loadcnt 0x0
	s_barrier_signal -1
	s_barrier_wait -1
	global_inv scope:SCOPE_SE
	s_cbranch_scc0 .LBB106_5
.LBB106_3:                              ; =>This Inner Loop Header: Depth=1
	v_mov_b32_e32 v5, 0x7b
	ds_store_b8 v0, v3 offset:256
	s_wait_dscnt 0x0
	s_barrier_signal -1
	s_barrier_wait -1
	global_inv scope:SCOPE_SE
	s_and_saveexec_b32 s1, vcc_lo
	s_cbranch_execz .LBB106_2
; %bb.4:                                ;   in Loop: Header=BB106_3 Depth=1
	ds_load_u8 v5, v0 offset:257
	s_branch .LBB106_2
.LBB106_5:
	s_add_nc_u64 s[0:1], s[6:7], s[2:3]
	v_lshrrev_b32_e32 v7, 24, v3
	v_add_co_u32 v5, s0, s0, v0
	s_wait_alu 0xf1ff
	v_add_co_ci_u32_e64 v6, null, s1, 0, s0
	v_lshrrev_b32_e32 v0, 8, v3
	v_lshrrev_b32_e32 v8, 8, v4
	;; [unrolled: 1-line block ×3, first 2 shown]
	s_clause 0x7
	global_store_b8 v[5:6], v3, off
	global_store_b8 v[5:6], v0, off offset:256
	global_store_d16_hi_b8 v[5:6], v3, off offset:512
	global_store_b8 v[5:6], v7, off offset:768
	global_store_b8 v[5:6], v4, off offset:1024
	;; [unrolled: 1-line block ×3, first 2 shown]
	global_store_d16_hi_b8 v[5:6], v4, off offset:1536
	global_store_b8 v[5:6], v9, off offset:1792
	v_lshrrev_b32_e32 v0, 8, v1
	v_lshrrev_b32_e32 v3, 24, v1
	;; [unrolled: 1-line block ×4, first 2 shown]
	s_clause 0x7
	global_store_b8 v[5:6], v1, off offset:2048
	global_store_b8 v[5:6], v0, off offset:2304
	global_store_d16_hi_b8 v[5:6], v1, off offset:2560
	global_store_b8 v[5:6], v3, off offset:2816
	global_store_b8 v[5:6], v2, off offset:3072
	;; [unrolled: 1-line block ×3, first 2 shown]
	global_store_d16_hi_b8 v[5:6], v2, off offset:3584
	global_store_b8 v[5:6], v7, off offset:3840
	s_endpgm
	.section	.rodata,"a",@progbits
	.p2align	6, 0x0
	.amdhsa_kernel _Z6kernelI14subtract_rightLj256ELj16ELb1EJPaS1_jEEvDpT3_
		.amdhsa_group_segment_fixed_size 512
		.amdhsa_private_segment_fixed_size 0
		.amdhsa_kernarg_size 20
		.amdhsa_user_sgpr_count 2
		.amdhsa_user_sgpr_dispatch_ptr 0
		.amdhsa_user_sgpr_queue_ptr 0
		.amdhsa_user_sgpr_kernarg_segment_ptr 1
		.amdhsa_user_sgpr_dispatch_id 0
		.amdhsa_user_sgpr_private_segment_size 0
		.amdhsa_wavefront_size32 1
		.amdhsa_uses_dynamic_stack 0
		.amdhsa_enable_private_segment 0
		.amdhsa_system_sgpr_workgroup_id_x 1
		.amdhsa_system_sgpr_workgroup_id_y 0
		.amdhsa_system_sgpr_workgroup_id_z 0
		.amdhsa_system_sgpr_workgroup_info 0
		.amdhsa_system_vgpr_workitem_id 0
		.amdhsa_next_free_vgpr 20
		.amdhsa_next_free_sgpr 8
		.amdhsa_reserve_vcc 1
		.amdhsa_float_round_mode_32 0
		.amdhsa_float_round_mode_16_64 0
		.amdhsa_float_denorm_mode_32 3
		.amdhsa_float_denorm_mode_16_64 3
		.amdhsa_fp16_overflow 0
		.amdhsa_workgroup_processor_mode 1
		.amdhsa_memory_ordered 1
		.amdhsa_forward_progress 1
		.amdhsa_inst_pref_size 11
		.amdhsa_round_robin_scheduling 0
		.amdhsa_exception_fp_ieee_invalid_op 0
		.amdhsa_exception_fp_denorm_src 0
		.amdhsa_exception_fp_ieee_div_zero 0
		.amdhsa_exception_fp_ieee_overflow 0
		.amdhsa_exception_fp_ieee_underflow 0
		.amdhsa_exception_fp_ieee_inexact 0
		.amdhsa_exception_int_div_zero 0
	.end_amdhsa_kernel
	.section	.text._Z6kernelI14subtract_rightLj256ELj16ELb1EJPaS1_jEEvDpT3_,"axG",@progbits,_Z6kernelI14subtract_rightLj256ELj16ELb1EJPaS1_jEEvDpT3_,comdat
.Lfunc_end106:
	.size	_Z6kernelI14subtract_rightLj256ELj16ELb1EJPaS1_jEEvDpT3_, .Lfunc_end106-_Z6kernelI14subtract_rightLj256ELj16ELb1EJPaS1_jEEvDpT3_
                                        ; -- End function
	.set _Z6kernelI14subtract_rightLj256ELj16ELb1EJPaS1_jEEvDpT3_.num_vgpr, 20
	.set _Z6kernelI14subtract_rightLj256ELj16ELb1EJPaS1_jEEvDpT3_.num_agpr, 0
	.set _Z6kernelI14subtract_rightLj256ELj16ELb1EJPaS1_jEEvDpT3_.numbered_sgpr, 8
	.set _Z6kernelI14subtract_rightLj256ELj16ELb1EJPaS1_jEEvDpT3_.num_named_barrier, 0
	.set _Z6kernelI14subtract_rightLj256ELj16ELb1EJPaS1_jEEvDpT3_.private_seg_size, 0
	.set _Z6kernelI14subtract_rightLj256ELj16ELb1EJPaS1_jEEvDpT3_.uses_vcc, 1
	.set _Z6kernelI14subtract_rightLj256ELj16ELb1EJPaS1_jEEvDpT3_.uses_flat_scratch, 0
	.set _Z6kernelI14subtract_rightLj256ELj16ELb1EJPaS1_jEEvDpT3_.has_dyn_sized_stack, 0
	.set _Z6kernelI14subtract_rightLj256ELj16ELb1EJPaS1_jEEvDpT3_.has_recursion, 0
	.set _Z6kernelI14subtract_rightLj256ELj16ELb1EJPaS1_jEEvDpT3_.has_indirect_call, 0
	.section	.AMDGPU.csdata,"",@progbits
; Kernel info:
; codeLenInByte = 1312
; TotalNumSgprs: 10
; NumVgprs: 20
; ScratchSize: 0
; MemoryBound: 0
; FloatMode: 240
; IeeeMode: 1
; LDSByteSize: 512 bytes/workgroup (compile time only)
; SGPRBlocks: 0
; VGPRBlocks: 2
; NumSGPRsForWavesPerEU: 10
; NumVGPRsForWavesPerEU: 20
; Occupancy: 16
; WaveLimiterHint : 1
; COMPUTE_PGM_RSRC2:SCRATCH_EN: 0
; COMPUTE_PGM_RSRC2:USER_SGPR: 2
; COMPUTE_PGM_RSRC2:TRAP_HANDLER: 0
; COMPUTE_PGM_RSRC2:TGID_X_EN: 1
; COMPUTE_PGM_RSRC2:TGID_Y_EN: 0
; COMPUTE_PGM_RSRC2:TGID_Z_EN: 0
; COMPUTE_PGM_RSRC2:TIDIG_COMP_CNT: 0
	.section	.text._Z6kernelI14subtract_rightLj256ELj32ELb1EJPaS1_jEEvDpT3_,"axG",@progbits,_Z6kernelI14subtract_rightLj256ELj32ELb1EJPaS1_jEEvDpT3_,comdat
	.protected	_Z6kernelI14subtract_rightLj256ELj32ELb1EJPaS1_jEEvDpT3_ ; -- Begin function _Z6kernelI14subtract_rightLj256ELj32ELb1EJPaS1_jEEvDpT3_
	.globl	_Z6kernelI14subtract_rightLj256ELj32ELb1EJPaS1_jEEvDpT3_
	.p2align	8
	.type	_Z6kernelI14subtract_rightLj256ELj32ELb1EJPaS1_jEEvDpT3_,@function
_Z6kernelI14subtract_rightLj256ELj32ELb1EJPaS1_jEEvDpT3_: ; @_Z6kernelI14subtract_rightLj256ELj32ELb1EJPaS1_jEEvDpT3_
; %bb.0:
	s_load_b128 s[4:7], s[0:1], 0x0
	s_lshl_b32 s2, ttmp9, 13
	s_mov_b32 s3, 0
	s_load_b32 s0, s[0:1], 0x10
	s_wait_kmcnt 0x0
	s_add_nc_u64 s[4:5], s[4:5], s[2:3]
	s_clause 0x1f
	global_load_u8 v1, v0, s[4:5] offset:256
	global_load_u8 v2, v0, s[4:5] offset:768
	;; [unrolled: 1-line block ×7, first 2 shown]
	global_load_u8 v8, v0, s[4:5]
	global_load_u8 v9, v0, s[4:5] offset:2304
	global_load_u8 v10, v0, s[4:5] offset:2816
	;; [unrolled: 1-line block ×24, first 2 shown]
	s_cmp_eq_u32 s0, 0
	s_wait_loadcnt 0x1b
	v_perm_b32 v4, v5, v4, 0xc0c0004
	s_wait_loadcnt 0x1a
	v_perm_b32 v3, v6, v3, 0xc0c0004
	;; [unrolled: 2-line block ×4, first 2 shown]
	v_lshl_or_b32 v8, v4, 16, v3
	s_delay_alu instid0(VALU_DEP_2)
	v_lshl_or_b32 v7, v2, 16, v1
	s_wait_loadcnt 0x11
	v_perm_b32 v6, v15, v10, 0xc0c0004
	s_wait_loadcnt 0x10
	v_perm_b32 v5, v16, v9, 0xc0c0004
	v_perm_b32 v9, v14, v11, 0xc0c0004
	;; [unrolled: 1-line block ×3, first 2 shown]
	s_wait_loadcnt 0xb
	v_perm_b32 v14, v21, v20, 0xc0c0004
	s_wait_loadcnt 0xa
	v_perm_b32 v13, v22, v19, 0xc0c0004
	;; [unrolled: 2-line block ×4, first 2 shown]
	v_lshl_or_b32 v5, v6, 16, v5
	v_lshl_or_b32 v6, v10, 16, v9
	;; [unrolled: 1-line block ×3, first 2 shown]
	s_wait_loadcnt 0x3
	v_perm_b32 v15, v29, v25, 0xc0c0004
	s_wait_loadcnt 0x2
	v_perm_b32 v16, v28, v30, 0xc0c0004
	;; [unrolled: 2-line block ×4, first 2 shown]
	v_lshl_or_b32 v3, v12, 16, v11
	v_lshl_or_b32 v1, v16, 16, v15
	s_delay_alu instid0(VALU_DEP_3)
	v_lshl_or_b32 v2, v18, 16, v17
	s_cbranch_scc1 .LBB107_5
; %bb.1:
	v_cmp_ne_u32_e32 vcc_lo, 0xff, v0
	s_branch .LBB107_3
.LBB107_2:                              ;   in Loop: Header=BB107_3 Depth=1
	s_or_b32 exec_lo, exec_lo, s1
	v_lshrrev_b64 v[10:11], 24, v[7:8]
	v_lshrrev_b32_e32 v12, 16, v7
	v_lshrrev_b32_e32 v13, 8, v7
	v_lshlrev_b16 v7, 1, v7
	v_lshrrev_b32_e32 v16, 8, v8
	v_lshrrev_b32_e32 v17, 16, v8
	v_lshlrev_b16 v27, 1, v12
	v_lshlrev_b16 v11, 1, v13
	v_lshlrev_b16 v28, 1, v10
	v_sub_nc_u16 v7, v7, v13
	v_lshrrev_b32_e32 v31, 24, v8
	v_sub_nc_u16 v10, v27, v10
	v_sub_nc_u16 v11, v11, v12
	;; [unrolled: 1-line block ×3, first 2 shown]
	v_and_b32_e32 v7, 0xff, v7
	v_lshlrev_b16 v8, 1, v8
	v_and_b32_e32 v10, 0xff, v10
	v_lshlrev_b16 v11, 8, v11
	v_lshlrev_b16 v12, 8, v12
	v_lshrrev_b32_e32 v30, 8, v5
	v_sub_nc_u16 v8, v8, v16
	v_lshrrev_b32_e32 v28, 16, v5
	v_or_b32_e32 v7, v7, v11
	v_or_b32_e32 v13, v10, v12
	v_lshrrev_b64 v[10:11], 24, v[1:2]
	v_lshrrev_b64 v[11:12], 24, v[3:4]
	v_and_b32_e32 v8, 0xff, v8
	v_and_b32_e32 v7, 0xffff, v7
	v_lshlrev_b32_e32 v32, 16, v13
	v_lshrrev_b64 v[12:13], 24, v[5:6]
	v_lshlrev_b16 v13, 1, v16
	v_lshlrev_b16 v16, 1, v17
	v_lshrrev_b32_e32 v18, 8, v6
	v_or_b32_e32 v7, v7, v32
	v_lshlrev_b16 v32, 1, v31
	v_sub_nc_u16 v13, v13, v17
	v_sub_nc_u16 v16, v16, v31
	v_lshlrev_b16 v17, 1, v5
	v_lshlrev_b16 v31, 1, v30
	v_sub_nc_u16 v5, v32, v5
	v_lshlrev_b16 v13, 8, v13
	v_lshrrev_b32_e32 v19, 16, v6
	v_sub_nc_u16 v17, v17, v30
	v_sub_nc_u16 v30, v31, v28
	v_lshlrev_b16 v31, 1, v12
	v_lshlrev_b16 v28, 1, v28
	v_or_b32_e32 v8, v8, v13
	v_lshrrev_b32_e32 v27, 24, v6
	v_and_b32_e32 v16, 0xff, v16
	v_sub_nc_u16 v13, v31, v6
	v_sub_nc_u16 v12, v28, v12
	v_lshlrev_b16 v5, 8, v5
	v_and_b32_e32 v17, 0xff, v17
	v_lshlrev_b16 v30, 8, v30
	v_lshlrev_b16 v13, 8, v13
	v_and_b32_e32 v12, 0xff, v12
	v_or_b32_e32 v5, v16, v5
	v_lshlrev_b16 v6, 1, v6
	v_or_b32_e32 v16, v17, v30
	v_lshlrev_b16 v17, 1, v18
	v_lshlrev_b16 v28, 1, v19
	v_or_b32_e32 v12, v12, v13
	v_lshlrev_b16 v13, 1, v27
	v_sub_nc_u16 v6, v6, v18
	v_sub_nc_u16 v17, v17, v19
	;; [unrolled: 1-line block ×3, first 2 shown]
	v_lshrrev_b32_e32 v20, 8, v4
	v_sub_nc_u16 v13, v13, v3
	v_lshrrev_b32_e32 v26, 16, v3
	v_lshrrev_b32_e32 v29, 8, v3
	v_and_b32_e32 v8, 0xffff, v8
	v_lshlrev_b32_e32 v5, 16, v5
	v_and_b32_e32 v16, 0xffff, v16
	v_lshlrev_b32_e32 v12, 16, v12
	v_and_b32_e32 v6, 0xff, v6
	v_lshlrev_b16 v17, 8, v17
	v_and_b32_e32 v18, 0xff, v18
	v_lshlrev_b16 v13, 8, v13
	v_lshrrev_b32_e32 v21, 16, v4
	v_lshlrev_b16 v3, 1, v3
	v_or_b32_e32 v8, v8, v5
	v_or_b32_e32 v5, v16, v12
	;; [unrolled: 1-line block ×4, first 2 shown]
	v_lshlrev_b16 v13, 1, v11
	v_lshlrev_b16 v16, 1, v29
	v_lshlrev_b16 v17, 1, v26
	v_lshlrev_b16 v18, 1, v4
	v_lshlrev_b16 v19, 1, v20
	v_lshrrev_b32_e32 v25, 24, v4
	v_sub_nc_u16 v3, v3, v29
	v_sub_nc_u16 v16, v16, v26
	;; [unrolled: 1-line block ×6, first 2 shown]
	v_lshrrev_b32_e32 v23, 16, v1
	v_lshrrev_b32_e32 v24, 8, v1
	v_and_b32_e32 v3, 0xff, v3
	v_lshlrev_b16 v16, 8, v16
	v_and_b32_e32 v11, 0xff, v11
	v_lshlrev_b16 v4, 8, v4
	;; [unrolled: 2-line block ×3, first 2 shown]
	v_lshrrev_b32_e32 v14, 8, v2
	v_lshrrev_b32_e32 v15, 16, v2
	v_lshrrev_b32_e32 v22, 24, v2
	v_or_b32_e32 v3, v3, v16
	v_or_b32_e32 v4, v11, v4
	v_lshlrev_b32_e32 v11, 16, v12
	v_or_b32_e32 v12, v13, v17
	v_lshlrev_b16 v16, 1, v25
	v_lshlrev_b16 v17, 1, v1
	;; [unrolled: 1-line block ×5, first 2 shown]
	v_sub_nc_u16 v1, v16, v1
	v_sub_nc_u16 v16, v17, v24
	;; [unrolled: 1-line block ×4, first 2 shown]
	v_lshlrev_b16 v10, 1, v10
	v_lshlrev_b16 v19, 1, v2
	;; [unrolled: 1-line block ×5, first 2 shown]
	v_sub_nc_u16 v13, v13, v25
	v_sub_nc_u16 v2, v10, v2
	v_sub_nc_u16 v10, v19, v14
	v_sub_nc_u16 v14, v20, v15
	v_sub_nc_u16 v15, v21, v22
	s_wait_dscnt 0x0
	v_sub_nc_u16 v9, v23, v9
	v_and_b32_e32 v13, 0xff, v13
	v_lshlrev_b16 v1, 8, v1
	v_and_b32_e32 v16, 0xff, v16
	v_lshlrev_b16 v17, 8, v17
	;; [unrolled: 2-line block ×5, first 2 shown]
	v_or_b32_e32 v1, v13, v1
	v_or_b32_e32 v13, v16, v17
	;; [unrolled: 1-line block ×5, first 2 shown]
	v_and_b32_e32 v6, 0xffff, v6
	v_and_b32_e32 v3, 0xffff, v3
	v_lshlrev_b32_e32 v4, 16, v4
	v_and_b32_e32 v12, 0xffff, v12
	v_lshlrev_b32_e32 v1, 16, v1
	;; [unrolled: 2-line block ×4, first 2 shown]
	v_or_b32_e32 v6, v6, v11
	v_or_b32_e32 v3, v3, v4
	;; [unrolled: 1-line block ×5, first 2 shown]
	s_add_co_i32 s0, s0, -1
	s_wait_loadcnt 0x0
	s_cmp_lg_u32 s0, 0
	s_barrier_signal -1
	s_barrier_wait -1
	global_inv scope:SCOPE_SE
	s_cbranch_scc0 .LBB107_5
.LBB107_3:                              ; =>This Inner Loop Header: Depth=1
	v_mov_b32_e32 v9, 0x7b
	ds_store_b8 v0, v7 offset:256
	s_wait_dscnt 0x0
	s_barrier_signal -1
	s_barrier_wait -1
	global_inv scope:SCOPE_SE
	s_and_saveexec_b32 s1, vcc_lo
	s_cbranch_execz .LBB107_2
; %bb.4:                                ;   in Loop: Header=BB107_3 Depth=1
	ds_load_u8 v9, v0 offset:257
	s_branch .LBB107_2
.LBB107_5:
	s_add_nc_u64 s[0:1], s[6:7], s[2:3]
	v_lshrrev_b32_e32 v11, 24, v7
	v_add_co_u32 v9, s0, s0, v0
	s_wait_alu 0xf1ff
	v_add_co_ci_u32_e64 v10, null, s1, 0, s0
	v_lshrrev_b32_e32 v0, 8, v7
	v_lshrrev_b32_e32 v12, 8, v8
	;; [unrolled: 1-line block ×3, first 2 shown]
	s_clause 0x7
	global_store_b8 v[9:10], v7, off
	global_store_b8 v[9:10], v0, off offset:256
	global_store_d16_hi_b8 v[9:10], v7, off offset:512
	global_store_b8 v[9:10], v11, off offset:768
	global_store_b8 v[9:10], v8, off offset:1024
	global_store_b8 v[9:10], v12, off offset:1280
	global_store_d16_hi_b8 v[9:10], v8, off offset:1536
	global_store_b8 v[9:10], v13, off offset:1792
	v_lshrrev_b32_e32 v0, 8, v5
	v_lshrrev_b32_e32 v7, 24, v5
	v_lshrrev_b32_e32 v8, 8, v6
	v_lshrrev_b32_e32 v11, 24, v6
	s_clause 0x7
	global_store_b8 v[9:10], v5, off offset:2048
	global_store_b8 v[9:10], v0, off offset:2304
	global_store_d16_hi_b8 v[9:10], v5, off offset:2560
	global_store_b8 v[9:10], v7, off offset:2816
	global_store_b8 v[9:10], v6, off offset:3072
	global_store_b8 v[9:10], v8, off offset:3328
	global_store_d16_hi_b8 v[9:10], v6, off offset:3584
	global_store_b8 v[9:10], v11, off offset:3840
	v_lshrrev_b32_e32 v0, 8, v3
	v_lshrrev_b32_e32 v5, 24, v3
	v_lshrrev_b32_e32 v6, 8, v4
	v_lshrrev_b32_e32 v7, 24, v4
	s_clause 0x7
	global_store_b8 v[9:10], v3, off offset:4096
	;; [unrolled: 13-line block ×3, first 2 shown]
	global_store_b8 v[9:10], v0, off offset:6400
	global_store_d16_hi_b8 v[9:10], v1, off offset:6656
	global_store_b8 v[9:10], v3, off offset:6912
	global_store_b8 v[9:10], v2, off offset:7168
	;; [unrolled: 1-line block ×3, first 2 shown]
	global_store_d16_hi_b8 v[9:10], v2, off offset:7680
	global_store_b8 v[9:10], v5, off offset:7936
	s_endpgm
	.section	.rodata,"a",@progbits
	.p2align	6, 0x0
	.amdhsa_kernel _Z6kernelI14subtract_rightLj256ELj32ELb1EJPaS1_jEEvDpT3_
		.amdhsa_group_segment_fixed_size 512
		.amdhsa_private_segment_fixed_size 0
		.amdhsa_kernarg_size 20
		.amdhsa_user_sgpr_count 2
		.amdhsa_user_sgpr_dispatch_ptr 0
		.amdhsa_user_sgpr_queue_ptr 0
		.amdhsa_user_sgpr_kernarg_segment_ptr 1
		.amdhsa_user_sgpr_dispatch_id 0
		.amdhsa_user_sgpr_private_segment_size 0
		.amdhsa_wavefront_size32 1
		.amdhsa_uses_dynamic_stack 0
		.amdhsa_enable_private_segment 0
		.amdhsa_system_sgpr_workgroup_id_x 1
		.amdhsa_system_sgpr_workgroup_id_y 0
		.amdhsa_system_sgpr_workgroup_id_z 0
		.amdhsa_system_sgpr_workgroup_info 0
		.amdhsa_system_vgpr_workitem_id 0
		.amdhsa_next_free_vgpr 33
		.amdhsa_next_free_sgpr 8
		.amdhsa_reserve_vcc 1
		.amdhsa_float_round_mode_32 0
		.amdhsa_float_round_mode_16_64 0
		.amdhsa_float_denorm_mode_32 3
		.amdhsa_float_denorm_mode_16_64 3
		.amdhsa_fp16_overflow 0
		.amdhsa_workgroup_processor_mode 1
		.amdhsa_memory_ordered 1
		.amdhsa_forward_progress 1
		.amdhsa_inst_pref_size 19
		.amdhsa_round_robin_scheduling 0
		.amdhsa_exception_fp_ieee_invalid_op 0
		.amdhsa_exception_fp_denorm_src 0
		.amdhsa_exception_fp_ieee_div_zero 0
		.amdhsa_exception_fp_ieee_overflow 0
		.amdhsa_exception_fp_ieee_underflow 0
		.amdhsa_exception_fp_ieee_inexact 0
		.amdhsa_exception_int_div_zero 0
	.end_amdhsa_kernel
	.section	.text._Z6kernelI14subtract_rightLj256ELj32ELb1EJPaS1_jEEvDpT3_,"axG",@progbits,_Z6kernelI14subtract_rightLj256ELj32ELb1EJPaS1_jEEvDpT3_,comdat
.Lfunc_end107:
	.size	_Z6kernelI14subtract_rightLj256ELj32ELb1EJPaS1_jEEvDpT3_, .Lfunc_end107-_Z6kernelI14subtract_rightLj256ELj32ELb1EJPaS1_jEEvDpT3_
                                        ; -- End function
	.set _Z6kernelI14subtract_rightLj256ELj32ELb1EJPaS1_jEEvDpT3_.num_vgpr, 33
	.set _Z6kernelI14subtract_rightLj256ELj32ELb1EJPaS1_jEEvDpT3_.num_agpr, 0
	.set _Z6kernelI14subtract_rightLj256ELj32ELb1EJPaS1_jEEvDpT3_.numbered_sgpr, 8
	.set _Z6kernelI14subtract_rightLj256ELj32ELb1EJPaS1_jEEvDpT3_.num_named_barrier, 0
	.set _Z6kernelI14subtract_rightLj256ELj32ELb1EJPaS1_jEEvDpT3_.private_seg_size, 0
	.set _Z6kernelI14subtract_rightLj256ELj32ELb1EJPaS1_jEEvDpT3_.uses_vcc, 1
	.set _Z6kernelI14subtract_rightLj256ELj32ELb1EJPaS1_jEEvDpT3_.uses_flat_scratch, 0
	.set _Z6kernelI14subtract_rightLj256ELj32ELb1EJPaS1_jEEvDpT3_.has_dyn_sized_stack, 0
	.set _Z6kernelI14subtract_rightLj256ELj32ELb1EJPaS1_jEEvDpT3_.has_recursion, 0
	.set _Z6kernelI14subtract_rightLj256ELj32ELb1EJPaS1_jEEvDpT3_.has_indirect_call, 0
	.section	.AMDGPU.csdata,"",@progbits
; Kernel info:
; codeLenInByte = 2428
; TotalNumSgprs: 10
; NumVgprs: 33
; ScratchSize: 0
; MemoryBound: 0
; FloatMode: 240
; IeeeMode: 1
; LDSByteSize: 512 bytes/workgroup (compile time only)
; SGPRBlocks: 0
; VGPRBlocks: 4
; NumSGPRsForWavesPerEU: 10
; NumVGPRsForWavesPerEU: 33
; Occupancy: 16
; WaveLimiterHint : 1
; COMPUTE_PGM_RSRC2:SCRATCH_EN: 0
; COMPUTE_PGM_RSRC2:USER_SGPR: 2
; COMPUTE_PGM_RSRC2:TRAP_HANDLER: 0
; COMPUTE_PGM_RSRC2:TGID_X_EN: 1
; COMPUTE_PGM_RSRC2:TGID_Y_EN: 0
; COMPUTE_PGM_RSRC2:TGID_Z_EN: 0
; COMPUTE_PGM_RSRC2:TIDIG_COMP_CNT: 0
	.section	.text._Z6kernelI14subtract_rightLj256ELj1ELb1EJPxS1_jEEvDpT3_,"axG",@progbits,_Z6kernelI14subtract_rightLj256ELj1ELb1EJPxS1_jEEvDpT3_,comdat
	.protected	_Z6kernelI14subtract_rightLj256ELj1ELb1EJPxS1_jEEvDpT3_ ; -- Begin function _Z6kernelI14subtract_rightLj256ELj1ELb1EJPxS1_jEEvDpT3_
	.globl	_Z6kernelI14subtract_rightLj256ELj1ELb1EJPxS1_jEEvDpT3_
	.p2align	8
	.type	_Z6kernelI14subtract_rightLj256ELj1ELb1EJPxS1_jEEvDpT3_,@function
_Z6kernelI14subtract_rightLj256ELj1ELb1EJPxS1_jEEvDpT3_: ; @_Z6kernelI14subtract_rightLj256ELj1ELb1EJPxS1_jEEvDpT3_
; %bb.0:
	s_load_b128 s[4:7], s[0:1], 0x0
	s_lshl_b32 s2, ttmp9, 8
	s_mov_b32 s3, 0
	v_lshlrev_b32_e32 v5, 3, v0
	s_lshl_b64 s[2:3], s[2:3], 3
	s_load_b32 s1, s[0:1], 0x10
	s_wait_kmcnt 0x0
	s_add_nc_u64 s[4:5], s[4:5], s[2:3]
	global_load_b64 v[1:2], v5, s[4:5]
	s_cmp_eq_u32 s1, 0
	s_cbranch_scc1 .LBB108_5
; %bb.1:
	v_cmp_ne_u32_e32 vcc_lo, 0xff, v0
	s_branch .LBB108_3
.LBB108_2:                              ;   in Loop: Header=BB108_3 Depth=1
	s_wait_alu 0xfffe
	s_or_b32 exec_lo, exec_lo, s0
	v_lshlrev_b64_e32 v[1:2], 1, v[1:2]
	s_add_co_i32 s1, s1, -1
	s_wait_loadcnt_dscnt 0x0
	s_wait_alu 0xfffe
	s_cmp_lg_u32 s1, 0
	s_barrier_signal -1
	s_barrier_wait -1
	v_sub_co_u32 v1, s0, v1, v3
	s_wait_alu 0xf1ff
	v_sub_co_ci_u32_e64 v2, null, v2, v4, s0
	global_inv scope:SCOPE_SE
	s_cbranch_scc0 .LBB108_5
.LBB108_3:                              ; =>This Inner Loop Header: Depth=1
	v_mov_b32_e32 v3, 0x7b
	v_mov_b32_e32 v4, 0
	s_wait_loadcnt 0x0
	ds_store_b64 v5, v[1:2] offset:2048
	s_wait_dscnt 0x0
	s_barrier_signal -1
	s_barrier_wait -1
	global_inv scope:SCOPE_SE
	s_and_saveexec_b32 s0, vcc_lo
	s_cbranch_execz .LBB108_2
; %bb.4:                                ;   in Loop: Header=BB108_3 Depth=1
	ds_load_b64 v[3:4], v5 offset:2056
	s_branch .LBB108_2
.LBB108_5:
	s_add_nc_u64 s[0:1], s[6:7], s[2:3]
	s_wait_loadcnt 0x0
	global_store_b64 v5, v[1:2], s[0:1]
	s_endpgm
	.section	.rodata,"a",@progbits
	.p2align	6, 0x0
	.amdhsa_kernel _Z6kernelI14subtract_rightLj256ELj1ELb1EJPxS1_jEEvDpT3_
		.amdhsa_group_segment_fixed_size 4096
		.amdhsa_private_segment_fixed_size 0
		.amdhsa_kernarg_size 20
		.amdhsa_user_sgpr_count 2
		.amdhsa_user_sgpr_dispatch_ptr 0
		.amdhsa_user_sgpr_queue_ptr 0
		.amdhsa_user_sgpr_kernarg_segment_ptr 1
		.amdhsa_user_sgpr_dispatch_id 0
		.amdhsa_user_sgpr_private_segment_size 0
		.amdhsa_wavefront_size32 1
		.amdhsa_uses_dynamic_stack 0
		.amdhsa_enable_private_segment 0
		.amdhsa_system_sgpr_workgroup_id_x 1
		.amdhsa_system_sgpr_workgroup_id_y 0
		.amdhsa_system_sgpr_workgroup_id_z 0
		.amdhsa_system_sgpr_workgroup_info 0
		.amdhsa_system_vgpr_workitem_id 0
		.amdhsa_next_free_vgpr 6
		.amdhsa_next_free_sgpr 8
		.amdhsa_reserve_vcc 1
		.amdhsa_float_round_mode_32 0
		.amdhsa_float_round_mode_16_64 0
		.amdhsa_float_denorm_mode_32 3
		.amdhsa_float_denorm_mode_16_64 3
		.amdhsa_fp16_overflow 0
		.amdhsa_workgroup_processor_mode 1
		.amdhsa_memory_ordered 1
		.amdhsa_forward_progress 1
		.amdhsa_inst_pref_size 2
		.amdhsa_round_robin_scheduling 0
		.amdhsa_exception_fp_ieee_invalid_op 0
		.amdhsa_exception_fp_denorm_src 0
		.amdhsa_exception_fp_ieee_div_zero 0
		.amdhsa_exception_fp_ieee_overflow 0
		.amdhsa_exception_fp_ieee_underflow 0
		.amdhsa_exception_fp_ieee_inexact 0
		.amdhsa_exception_int_div_zero 0
	.end_amdhsa_kernel
	.section	.text._Z6kernelI14subtract_rightLj256ELj1ELb1EJPxS1_jEEvDpT3_,"axG",@progbits,_Z6kernelI14subtract_rightLj256ELj1ELb1EJPxS1_jEEvDpT3_,comdat
.Lfunc_end108:
	.size	_Z6kernelI14subtract_rightLj256ELj1ELb1EJPxS1_jEEvDpT3_, .Lfunc_end108-_Z6kernelI14subtract_rightLj256ELj1ELb1EJPxS1_jEEvDpT3_
                                        ; -- End function
	.set _Z6kernelI14subtract_rightLj256ELj1ELb1EJPxS1_jEEvDpT3_.num_vgpr, 6
	.set _Z6kernelI14subtract_rightLj256ELj1ELb1EJPxS1_jEEvDpT3_.num_agpr, 0
	.set _Z6kernelI14subtract_rightLj256ELj1ELb1EJPxS1_jEEvDpT3_.numbered_sgpr, 8
	.set _Z6kernelI14subtract_rightLj256ELj1ELb1EJPxS1_jEEvDpT3_.num_named_barrier, 0
	.set _Z6kernelI14subtract_rightLj256ELj1ELb1EJPxS1_jEEvDpT3_.private_seg_size, 0
	.set _Z6kernelI14subtract_rightLj256ELj1ELb1EJPxS1_jEEvDpT3_.uses_vcc, 1
	.set _Z6kernelI14subtract_rightLj256ELj1ELb1EJPxS1_jEEvDpT3_.uses_flat_scratch, 0
	.set _Z6kernelI14subtract_rightLj256ELj1ELb1EJPxS1_jEEvDpT3_.has_dyn_sized_stack, 0
	.set _Z6kernelI14subtract_rightLj256ELj1ELb1EJPxS1_jEEvDpT3_.has_recursion, 0
	.set _Z6kernelI14subtract_rightLj256ELj1ELb1EJPxS1_jEEvDpT3_.has_indirect_call, 0
	.section	.AMDGPU.csdata,"",@progbits
; Kernel info:
; codeLenInByte = 236
; TotalNumSgprs: 10
; NumVgprs: 6
; ScratchSize: 0
; MemoryBound: 0
; FloatMode: 240
; IeeeMode: 1
; LDSByteSize: 4096 bytes/workgroup (compile time only)
; SGPRBlocks: 0
; VGPRBlocks: 0
; NumSGPRsForWavesPerEU: 10
; NumVGPRsForWavesPerEU: 6
; Occupancy: 16
; WaveLimiterHint : 0
; COMPUTE_PGM_RSRC2:SCRATCH_EN: 0
; COMPUTE_PGM_RSRC2:USER_SGPR: 2
; COMPUTE_PGM_RSRC2:TRAP_HANDLER: 0
; COMPUTE_PGM_RSRC2:TGID_X_EN: 1
; COMPUTE_PGM_RSRC2:TGID_Y_EN: 0
; COMPUTE_PGM_RSRC2:TGID_Z_EN: 0
; COMPUTE_PGM_RSRC2:TIDIG_COMP_CNT: 0
	.section	.text._Z6kernelI14subtract_rightLj256ELj3ELb1EJPxS1_jEEvDpT3_,"axG",@progbits,_Z6kernelI14subtract_rightLj256ELj3ELb1EJPxS1_jEEvDpT3_,comdat
	.protected	_Z6kernelI14subtract_rightLj256ELj3ELb1EJPxS1_jEEvDpT3_ ; -- Begin function _Z6kernelI14subtract_rightLj256ELj3ELb1EJPxS1_jEEvDpT3_
	.globl	_Z6kernelI14subtract_rightLj256ELj3ELb1EJPxS1_jEEvDpT3_
	.p2align	8
	.type	_Z6kernelI14subtract_rightLj256ELj3ELb1EJPxS1_jEEvDpT3_,@function
_Z6kernelI14subtract_rightLj256ELj3ELb1EJPxS1_jEEvDpT3_: ; @_Z6kernelI14subtract_rightLj256ELj3ELb1EJPxS1_jEEvDpT3_
; %bb.0:
	s_load_b128 s[4:7], s[0:1], 0x0
	s_mul_i32 s2, ttmp9, 0x300
	s_mov_b32 s3, 0
	v_lshlrev_b32_e32 v9, 3, v0
	s_lshl_b64 s[2:3], s[2:3], 3
	s_load_b32 s1, s[0:1], 0x10
	s_wait_kmcnt 0x0
	s_add_nc_u64 s[4:5], s[4:5], s[2:3]
	s_clause 0x2
	global_load_b64 v[5:6], v9, s[4:5]
	global_load_b64 v[1:2], v9, s[4:5] offset:2048
	global_load_b64 v[3:4], v9, s[4:5] offset:4096
	s_cmp_eq_u32 s1, 0
	s_cbranch_scc1 .LBB109_5
; %bb.1:
	v_cmp_ne_u32_e32 vcc_lo, 0xff, v0
	s_branch .LBB109_3
.LBB109_2:                              ;   in Loop: Header=BB109_3 Depth=1
	s_wait_alu 0xfffe
	s_or_b32 exec_lo, exec_lo, s0
	v_lshlrev_b64_e32 v[5:6], 1, v[5:6]
	v_lshlrev_b64_e32 v[10:11], 1, v[1:2]
	;; [unrolled: 1-line block ×3, first 2 shown]
	s_add_co_i32 s1, s1, -1
	s_wait_loadcnt_dscnt 0x0
	s_wait_alu 0xfffe
	s_cmp_lg_u32 s1, 0
	v_sub_co_u32 v5, s0, v5, v1
	s_wait_alu 0xf1ff
	v_sub_co_ci_u32_e64 v6, null, v6, v2, s0
	v_sub_co_u32 v1, s0, v10, v3
	s_wait_alu 0xf1ff
	v_sub_co_ci_u32_e64 v2, null, v11, v4, s0
	v_sub_co_u32 v3, s0, v12, v7
	s_wait_alu 0xf1ff
	v_sub_co_ci_u32_e64 v4, null, v13, v8, s0
	s_barrier_signal -1
	s_barrier_wait -1
	global_inv scope:SCOPE_SE
	s_cbranch_scc0 .LBB109_5
.LBB109_3:                              ; =>This Inner Loop Header: Depth=1
	v_mov_b32_e32 v7, 0x7b
	v_mov_b32_e32 v8, 0
	s_wait_loadcnt 0x2
	ds_store_b64 v9, v[5:6] offset:2048
	s_wait_loadcnt_dscnt 0x0
	s_barrier_signal -1
	s_barrier_wait -1
	global_inv scope:SCOPE_SE
	s_and_saveexec_b32 s0, vcc_lo
	s_cbranch_execz .LBB109_2
; %bb.4:                                ;   in Loop: Header=BB109_3 Depth=1
	ds_load_b64 v[7:8], v9 offset:2056
	s_branch .LBB109_2
.LBB109_5:
	s_add_nc_u64 s[0:1], s[6:7], s[2:3]
	s_wait_loadcnt 0x2
	global_store_b64 v9, v[5:6], s[0:1]
	s_wait_loadcnt 0x1
	global_store_b64 v9, v[1:2], s[0:1] offset:2048
	s_wait_loadcnt 0x0
	global_store_b64 v9, v[3:4], s[0:1] offset:4096
	s_endpgm
	.section	.rodata,"a",@progbits
	.p2align	6, 0x0
	.amdhsa_kernel _Z6kernelI14subtract_rightLj256ELj3ELb1EJPxS1_jEEvDpT3_
		.amdhsa_group_segment_fixed_size 4096
		.amdhsa_private_segment_fixed_size 0
		.amdhsa_kernarg_size 20
		.amdhsa_user_sgpr_count 2
		.amdhsa_user_sgpr_dispatch_ptr 0
		.amdhsa_user_sgpr_queue_ptr 0
		.amdhsa_user_sgpr_kernarg_segment_ptr 1
		.amdhsa_user_sgpr_dispatch_id 0
		.amdhsa_user_sgpr_private_segment_size 0
		.amdhsa_wavefront_size32 1
		.amdhsa_uses_dynamic_stack 0
		.amdhsa_enable_private_segment 0
		.amdhsa_system_sgpr_workgroup_id_x 1
		.amdhsa_system_sgpr_workgroup_id_y 0
		.amdhsa_system_sgpr_workgroup_id_z 0
		.amdhsa_system_sgpr_workgroup_info 0
		.amdhsa_system_vgpr_workitem_id 0
		.amdhsa_next_free_vgpr 14
		.amdhsa_next_free_sgpr 8
		.amdhsa_reserve_vcc 1
		.amdhsa_float_round_mode_32 0
		.amdhsa_float_round_mode_16_64 0
		.amdhsa_float_denorm_mode_32 3
		.amdhsa_float_denorm_mode_16_64 3
		.amdhsa_fp16_overflow 0
		.amdhsa_workgroup_processor_mode 1
		.amdhsa_memory_ordered 1
		.amdhsa_forward_progress 1
		.amdhsa_inst_pref_size 3
		.amdhsa_round_robin_scheduling 0
		.amdhsa_exception_fp_ieee_invalid_op 0
		.amdhsa_exception_fp_denorm_src 0
		.amdhsa_exception_fp_ieee_div_zero 0
		.amdhsa_exception_fp_ieee_overflow 0
		.amdhsa_exception_fp_ieee_underflow 0
		.amdhsa_exception_fp_ieee_inexact 0
		.amdhsa_exception_int_div_zero 0
	.end_amdhsa_kernel
	.section	.text._Z6kernelI14subtract_rightLj256ELj3ELb1EJPxS1_jEEvDpT3_,"axG",@progbits,_Z6kernelI14subtract_rightLj256ELj3ELb1EJPxS1_jEEvDpT3_,comdat
.Lfunc_end109:
	.size	_Z6kernelI14subtract_rightLj256ELj3ELb1EJPxS1_jEEvDpT3_, .Lfunc_end109-_Z6kernelI14subtract_rightLj256ELj3ELb1EJPxS1_jEEvDpT3_
                                        ; -- End function
	.set _Z6kernelI14subtract_rightLj256ELj3ELb1EJPxS1_jEEvDpT3_.num_vgpr, 14
	.set _Z6kernelI14subtract_rightLj256ELj3ELb1EJPxS1_jEEvDpT3_.num_agpr, 0
	.set _Z6kernelI14subtract_rightLj256ELj3ELb1EJPxS1_jEEvDpT3_.numbered_sgpr, 8
	.set _Z6kernelI14subtract_rightLj256ELj3ELb1EJPxS1_jEEvDpT3_.num_named_barrier, 0
	.set _Z6kernelI14subtract_rightLj256ELj3ELb1EJPxS1_jEEvDpT3_.private_seg_size, 0
	.set _Z6kernelI14subtract_rightLj256ELj3ELb1EJPxS1_jEEvDpT3_.uses_vcc, 1
	.set _Z6kernelI14subtract_rightLj256ELj3ELb1EJPxS1_jEEvDpT3_.uses_flat_scratch, 0
	.set _Z6kernelI14subtract_rightLj256ELj3ELb1EJPxS1_jEEvDpT3_.has_dyn_sized_stack, 0
	.set _Z6kernelI14subtract_rightLj256ELj3ELb1EJPxS1_jEEvDpT3_.has_recursion, 0
	.set _Z6kernelI14subtract_rightLj256ELj3ELb1EJPxS1_jEEvDpT3_.has_indirect_call, 0
	.section	.AMDGPU.csdata,"",@progbits
; Kernel info:
; codeLenInByte = 348
; TotalNumSgprs: 10
; NumVgprs: 14
; ScratchSize: 0
; MemoryBound: 0
; FloatMode: 240
; IeeeMode: 1
; LDSByteSize: 4096 bytes/workgroup (compile time only)
; SGPRBlocks: 0
; VGPRBlocks: 1
; NumSGPRsForWavesPerEU: 10
; NumVGPRsForWavesPerEU: 14
; Occupancy: 16
; WaveLimiterHint : 1
; COMPUTE_PGM_RSRC2:SCRATCH_EN: 0
; COMPUTE_PGM_RSRC2:USER_SGPR: 2
; COMPUTE_PGM_RSRC2:TRAP_HANDLER: 0
; COMPUTE_PGM_RSRC2:TGID_X_EN: 1
; COMPUTE_PGM_RSRC2:TGID_Y_EN: 0
; COMPUTE_PGM_RSRC2:TGID_Z_EN: 0
; COMPUTE_PGM_RSRC2:TIDIG_COMP_CNT: 0
	.section	.text._Z6kernelI14subtract_rightLj256ELj4ELb1EJPxS1_jEEvDpT3_,"axG",@progbits,_Z6kernelI14subtract_rightLj256ELj4ELb1EJPxS1_jEEvDpT3_,comdat
	.protected	_Z6kernelI14subtract_rightLj256ELj4ELb1EJPxS1_jEEvDpT3_ ; -- Begin function _Z6kernelI14subtract_rightLj256ELj4ELb1EJPxS1_jEEvDpT3_
	.globl	_Z6kernelI14subtract_rightLj256ELj4ELb1EJPxS1_jEEvDpT3_
	.p2align	8
	.type	_Z6kernelI14subtract_rightLj256ELj4ELb1EJPxS1_jEEvDpT3_,@function
_Z6kernelI14subtract_rightLj256ELj4ELb1EJPxS1_jEEvDpT3_: ; @_Z6kernelI14subtract_rightLj256ELj4ELb1EJPxS1_jEEvDpT3_
; %bb.0:
	s_load_b128 s[4:7], s[0:1], 0x0
	s_lshl_b32 s2, ttmp9, 10
	s_mov_b32 s3, 0
	v_lshlrev_b32_e32 v11, 3, v0
	s_lshl_b64 s[2:3], s[2:3], 3
	s_load_b32 s1, s[0:1], 0x10
	s_wait_kmcnt 0x0
	s_add_nc_u64 s[4:5], s[4:5], s[2:3]
	s_clause 0x3
	global_load_b64 v[7:8], v11, s[4:5]
	global_load_b64 v[1:2], v11, s[4:5] offset:2048
	global_load_b64 v[5:6], v11, s[4:5] offset:4096
	global_load_b64 v[3:4], v11, s[4:5] offset:6144
	s_cmp_eq_u32 s1, 0
	s_cbranch_scc1 .LBB110_5
; %bb.1:
	v_cmp_ne_u32_e32 vcc_lo, 0xff, v0
	s_branch .LBB110_3
.LBB110_2:                              ;   in Loop: Header=BB110_3 Depth=1
	s_wait_alu 0xfffe
	s_or_b32 exec_lo, exec_lo, s0
	v_lshlrev_b64_e32 v[7:8], 1, v[7:8]
	v_lshlrev_b64_e32 v[12:13], 1, v[1:2]
	;; [unrolled: 1-line block ×3, first 2 shown]
	s_add_co_i32 s1, s1, -1
	s_wait_loadcnt_dscnt 0x0
	s_wait_alu 0xfffe
	s_cmp_lg_u32 s1, 0
	v_sub_co_u32 v7, s0, v7, v1
	s_wait_alu 0xf1ff
	v_sub_co_ci_u32_e64 v8, null, v8, v2, s0
	v_sub_co_u32 v1, s0, v12, v5
	s_wait_alu 0xf1ff
	v_sub_co_ci_u32_e64 v2, null, v13, v6, s0
	v_lshlrev_b64_e32 v[12:13], 1, v[3:4]
	v_sub_co_u32 v5, s0, v14, v3
	s_wait_alu 0xf1ff
	v_sub_co_ci_u32_e64 v6, null, v15, v4, s0
	s_barrier_signal -1
	s_delay_alu instid0(VALU_DEP_3)
	v_sub_co_u32 v3, s0, v12, v9
	s_wait_alu 0xf1ff
	v_sub_co_ci_u32_e64 v4, null, v13, v10, s0
	s_barrier_wait -1
	global_inv scope:SCOPE_SE
	s_cbranch_scc0 .LBB110_5
.LBB110_3:                              ; =>This Inner Loop Header: Depth=1
	v_mov_b32_e32 v9, 0x7b
	v_mov_b32_e32 v10, 0
	s_wait_loadcnt 0x3
	ds_store_b64 v11, v[7:8] offset:2048
	s_wait_loadcnt_dscnt 0x0
	s_barrier_signal -1
	s_barrier_wait -1
	global_inv scope:SCOPE_SE
	s_and_saveexec_b32 s0, vcc_lo
	s_cbranch_execz .LBB110_2
; %bb.4:                                ;   in Loop: Header=BB110_3 Depth=1
	ds_load_b64 v[9:10], v11 offset:2056
	s_branch .LBB110_2
.LBB110_5:
	s_add_nc_u64 s[0:1], s[6:7], s[2:3]
	s_wait_loadcnt 0x3
	global_store_b64 v11, v[7:8], s[0:1]
	s_wait_loadcnt 0x2
	global_store_b64 v11, v[1:2], s[0:1] offset:2048
	s_wait_loadcnt 0x1
	global_store_b64 v11, v[5:6], s[0:1] offset:4096
	;; [unrolled: 2-line block ×3, first 2 shown]
	s_endpgm
	.section	.rodata,"a",@progbits
	.p2align	6, 0x0
	.amdhsa_kernel _Z6kernelI14subtract_rightLj256ELj4ELb1EJPxS1_jEEvDpT3_
		.amdhsa_group_segment_fixed_size 4096
		.amdhsa_private_segment_fixed_size 0
		.amdhsa_kernarg_size 20
		.amdhsa_user_sgpr_count 2
		.amdhsa_user_sgpr_dispatch_ptr 0
		.amdhsa_user_sgpr_queue_ptr 0
		.amdhsa_user_sgpr_kernarg_segment_ptr 1
		.amdhsa_user_sgpr_dispatch_id 0
		.amdhsa_user_sgpr_private_segment_size 0
		.amdhsa_wavefront_size32 1
		.amdhsa_uses_dynamic_stack 0
		.amdhsa_enable_private_segment 0
		.amdhsa_system_sgpr_workgroup_id_x 1
		.amdhsa_system_sgpr_workgroup_id_y 0
		.amdhsa_system_sgpr_workgroup_id_z 0
		.amdhsa_system_sgpr_workgroup_info 0
		.amdhsa_system_vgpr_workitem_id 0
		.amdhsa_next_free_vgpr 16
		.amdhsa_next_free_sgpr 8
		.amdhsa_reserve_vcc 1
		.amdhsa_float_round_mode_32 0
		.amdhsa_float_round_mode_16_64 0
		.amdhsa_float_denorm_mode_32 3
		.amdhsa_float_denorm_mode_16_64 3
		.amdhsa_fp16_overflow 0
		.amdhsa_workgroup_processor_mode 1
		.amdhsa_memory_ordered 1
		.amdhsa_forward_progress 1
		.amdhsa_inst_pref_size 4
		.amdhsa_round_robin_scheduling 0
		.amdhsa_exception_fp_ieee_invalid_op 0
		.amdhsa_exception_fp_denorm_src 0
		.amdhsa_exception_fp_ieee_div_zero 0
		.amdhsa_exception_fp_ieee_overflow 0
		.amdhsa_exception_fp_ieee_underflow 0
		.amdhsa_exception_fp_ieee_inexact 0
		.amdhsa_exception_int_div_zero 0
	.end_amdhsa_kernel
	.section	.text._Z6kernelI14subtract_rightLj256ELj4ELb1EJPxS1_jEEvDpT3_,"axG",@progbits,_Z6kernelI14subtract_rightLj256ELj4ELb1EJPxS1_jEEvDpT3_,comdat
.Lfunc_end110:
	.size	_Z6kernelI14subtract_rightLj256ELj4ELb1EJPxS1_jEEvDpT3_, .Lfunc_end110-_Z6kernelI14subtract_rightLj256ELj4ELb1EJPxS1_jEEvDpT3_
                                        ; -- End function
	.set _Z6kernelI14subtract_rightLj256ELj4ELb1EJPxS1_jEEvDpT3_.num_vgpr, 16
	.set _Z6kernelI14subtract_rightLj256ELj4ELb1EJPxS1_jEEvDpT3_.num_agpr, 0
	.set _Z6kernelI14subtract_rightLj256ELj4ELb1EJPxS1_jEEvDpT3_.numbered_sgpr, 8
	.set _Z6kernelI14subtract_rightLj256ELj4ELb1EJPxS1_jEEvDpT3_.num_named_barrier, 0
	.set _Z6kernelI14subtract_rightLj256ELj4ELb1EJPxS1_jEEvDpT3_.private_seg_size, 0
	.set _Z6kernelI14subtract_rightLj256ELj4ELb1EJPxS1_jEEvDpT3_.uses_vcc, 1
	.set _Z6kernelI14subtract_rightLj256ELj4ELb1EJPxS1_jEEvDpT3_.uses_flat_scratch, 0
	.set _Z6kernelI14subtract_rightLj256ELj4ELb1EJPxS1_jEEvDpT3_.has_dyn_sized_stack, 0
	.set _Z6kernelI14subtract_rightLj256ELj4ELb1EJPxS1_jEEvDpT3_.has_recursion, 0
	.set _Z6kernelI14subtract_rightLj256ELj4ELb1EJPxS1_jEEvDpT3_.has_indirect_call, 0
	.section	.AMDGPU.csdata,"",@progbits
; Kernel info:
; codeLenInByte = 400
; TotalNumSgprs: 10
; NumVgprs: 16
; ScratchSize: 0
; MemoryBound: 0
; FloatMode: 240
; IeeeMode: 1
; LDSByteSize: 4096 bytes/workgroup (compile time only)
; SGPRBlocks: 0
; VGPRBlocks: 1
; NumSGPRsForWavesPerEU: 10
; NumVGPRsForWavesPerEU: 16
; Occupancy: 16
; WaveLimiterHint : 1
; COMPUTE_PGM_RSRC2:SCRATCH_EN: 0
; COMPUTE_PGM_RSRC2:USER_SGPR: 2
; COMPUTE_PGM_RSRC2:TRAP_HANDLER: 0
; COMPUTE_PGM_RSRC2:TGID_X_EN: 1
; COMPUTE_PGM_RSRC2:TGID_Y_EN: 0
; COMPUTE_PGM_RSRC2:TGID_Z_EN: 0
; COMPUTE_PGM_RSRC2:TIDIG_COMP_CNT: 0
	.section	.text._Z6kernelI14subtract_rightLj256ELj8ELb1EJPxS1_jEEvDpT3_,"axG",@progbits,_Z6kernelI14subtract_rightLj256ELj8ELb1EJPxS1_jEEvDpT3_,comdat
	.protected	_Z6kernelI14subtract_rightLj256ELj8ELb1EJPxS1_jEEvDpT3_ ; -- Begin function _Z6kernelI14subtract_rightLj256ELj8ELb1EJPxS1_jEEvDpT3_
	.globl	_Z6kernelI14subtract_rightLj256ELj8ELb1EJPxS1_jEEvDpT3_
	.p2align	8
	.type	_Z6kernelI14subtract_rightLj256ELj8ELb1EJPxS1_jEEvDpT3_,@function
_Z6kernelI14subtract_rightLj256ELj8ELb1EJPxS1_jEEvDpT3_: ; @_Z6kernelI14subtract_rightLj256ELj8ELb1EJPxS1_jEEvDpT3_
; %bb.0:
	s_load_b128 s[4:7], s[0:1], 0x0
	s_lshl_b32 s2, ttmp9, 11
	s_mov_b32 s3, 0
	v_lshlrev_b32_e32 v19, 3, v0
	s_lshl_b64 s[2:3], s[2:3], 3
	s_load_b32 s1, s[0:1], 0x10
	s_wait_kmcnt 0x0
	s_add_nc_u64 s[4:5], s[4:5], s[2:3]
	s_clause 0x7
	global_load_b64 v[1:2], v19, s[4:5]
	global_load_b64 v[3:4], v19, s[4:5] offset:2048
	global_load_b64 v[5:6], v19, s[4:5] offset:4096
	global_load_b64 v[7:8], v19, s[4:5] offset:6144
	global_load_b64 v[9:10], v19, s[4:5] offset:8192
	global_load_b64 v[11:12], v19, s[4:5] offset:10240
	global_load_b64 v[13:14], v19, s[4:5] offset:12288
	global_load_b64 v[15:16], v19, s[4:5] offset:14336
	s_cmp_eq_u32 s1, 0
	s_cbranch_scc1 .LBB111_5
; %bb.1:
	v_cmp_ne_u32_e32 vcc_lo, 0xff, v0
	s_branch .LBB111_3
.LBB111_2:                              ;   in Loop: Header=BB111_3 Depth=1
	s_wait_alu 0xfffe
	s_or_b32 exec_lo, exec_lo, s0
	v_sub_co_u32 v0, s0, v1, v3
	s_wait_alu 0xf1ff
	v_sub_co_ci_u32_e64 v20, null, v2, v4, s0
	v_sub_co_u32 v21, s0, v3, v5
	s_wait_alu 0xf1ff
	v_sub_co_ci_u32_e64 v22, null, v4, v6, s0
	;; [unrolled: 3-line block ×7, first 2 shown]
	s_wait_dscnt 0x0
	v_sub_co_u32 v17, s0, v15, v17
	s_wait_alu 0xf1ff
	v_sub_co_ci_u32_e64 v18, null, v16, v18, s0
	v_add_co_u32 v1, s0, v0, v1
	s_wait_alu 0xf1ff
	v_add_co_ci_u32_e64 v2, null, v20, v2, s0
	v_add_co_u32 v3, s0, v21, v3
	s_wait_alu 0xf1ff
	v_add_co_ci_u32_e64 v4, null, v22, v4, s0
	v_add_co_u32 v5, s0, v23, v5
	s_wait_alu 0xf1ff
	v_add_co_ci_u32_e64 v6, null, v24, v6, s0
	v_add_co_u32 v7, s0, v25, v7
	s_wait_alu 0xf1ff
	v_add_co_ci_u32_e64 v8, null, v26, v8, s0
	v_add_co_u32 v9, s0, v27, v9
	s_wait_alu 0xf1ff
	v_add_co_ci_u32_e64 v10, null, v28, v10, s0
	v_add_co_u32 v11, s0, v29, v11
	s_wait_alu 0xf1ff
	v_add_co_ci_u32_e64 v12, null, v30, v12, s0
	v_add_co_u32 v13, s0, v31, v13
	s_wait_alu 0xf1ff
	v_add_co_ci_u32_e64 v14, null, v32, v14, s0
	v_add_co_u32 v15, s0, v17, v15
	s_wait_alu 0xf1ff
	v_add_co_ci_u32_e64 v16, null, v18, v16, s0
	s_add_co_i32 s1, s1, -1
	s_wait_loadcnt 0x0
	s_wait_alu 0xfffe
	s_cmp_lg_u32 s1, 0
	s_barrier_signal -1
	s_barrier_wait -1
	global_inv scope:SCOPE_SE
	s_cbranch_scc0 .LBB111_5
.LBB111_3:                              ; =>This Inner Loop Header: Depth=1
	v_mov_b32_e32 v17, 0x7b
	v_mov_b32_e32 v18, 0
	s_wait_loadcnt 0x7
	ds_store_b64 v19, v[1:2] offset:2048
	s_wait_loadcnt_dscnt 0x0
	s_barrier_signal -1
	s_barrier_wait -1
	global_inv scope:SCOPE_SE
	s_and_saveexec_b32 s0, vcc_lo
	s_cbranch_execz .LBB111_2
; %bb.4:                                ;   in Loop: Header=BB111_3 Depth=1
	ds_load_b64 v[17:18], v19 offset:2056
	s_branch .LBB111_2
.LBB111_5:
	s_add_nc_u64 s[0:1], s[6:7], s[2:3]
	s_wait_loadcnt 0x7
	global_store_b64 v19, v[1:2], s[0:1]
	s_wait_loadcnt 0x6
	global_store_b64 v19, v[3:4], s[0:1] offset:2048
	s_wait_loadcnt 0x5
	global_store_b64 v19, v[5:6], s[0:1] offset:4096
	;; [unrolled: 2-line block ×7, first 2 shown]
	s_endpgm
	.section	.rodata,"a",@progbits
	.p2align	6, 0x0
	.amdhsa_kernel _Z6kernelI14subtract_rightLj256ELj8ELb1EJPxS1_jEEvDpT3_
		.amdhsa_group_segment_fixed_size 4096
		.amdhsa_private_segment_fixed_size 0
		.amdhsa_kernarg_size 20
		.amdhsa_user_sgpr_count 2
		.amdhsa_user_sgpr_dispatch_ptr 0
		.amdhsa_user_sgpr_queue_ptr 0
		.amdhsa_user_sgpr_kernarg_segment_ptr 1
		.amdhsa_user_sgpr_dispatch_id 0
		.amdhsa_user_sgpr_private_segment_size 0
		.amdhsa_wavefront_size32 1
		.amdhsa_uses_dynamic_stack 0
		.amdhsa_enable_private_segment 0
		.amdhsa_system_sgpr_workgroup_id_x 1
		.amdhsa_system_sgpr_workgroup_id_y 0
		.amdhsa_system_sgpr_workgroup_id_z 0
		.amdhsa_system_sgpr_workgroup_info 0
		.amdhsa_system_vgpr_workitem_id 0
		.amdhsa_next_free_vgpr 33
		.amdhsa_next_free_sgpr 8
		.amdhsa_reserve_vcc 1
		.amdhsa_float_round_mode_32 0
		.amdhsa_float_round_mode_16_64 0
		.amdhsa_float_denorm_mode_32 3
		.amdhsa_float_denorm_mode_16_64 3
		.amdhsa_fp16_overflow 0
		.amdhsa_workgroup_processor_mode 1
		.amdhsa_memory_ordered 1
		.amdhsa_forward_progress 1
		.amdhsa_inst_pref_size 6
		.amdhsa_round_robin_scheduling 0
		.amdhsa_exception_fp_ieee_invalid_op 0
		.amdhsa_exception_fp_denorm_src 0
		.amdhsa_exception_fp_ieee_div_zero 0
		.amdhsa_exception_fp_ieee_overflow 0
		.amdhsa_exception_fp_ieee_underflow 0
		.amdhsa_exception_fp_ieee_inexact 0
		.amdhsa_exception_int_div_zero 0
	.end_amdhsa_kernel
	.section	.text._Z6kernelI14subtract_rightLj256ELj8ELb1EJPxS1_jEEvDpT3_,"axG",@progbits,_Z6kernelI14subtract_rightLj256ELj8ELb1EJPxS1_jEEvDpT3_,comdat
.Lfunc_end111:
	.size	_Z6kernelI14subtract_rightLj256ELj8ELb1EJPxS1_jEEvDpT3_, .Lfunc_end111-_Z6kernelI14subtract_rightLj256ELj8ELb1EJPxS1_jEEvDpT3_
                                        ; -- End function
	.set _Z6kernelI14subtract_rightLj256ELj8ELb1EJPxS1_jEEvDpT3_.num_vgpr, 33
	.set _Z6kernelI14subtract_rightLj256ELj8ELb1EJPxS1_jEEvDpT3_.num_agpr, 0
	.set _Z6kernelI14subtract_rightLj256ELj8ELb1EJPxS1_jEEvDpT3_.numbered_sgpr, 8
	.set _Z6kernelI14subtract_rightLj256ELj8ELb1EJPxS1_jEEvDpT3_.num_named_barrier, 0
	.set _Z6kernelI14subtract_rightLj256ELj8ELb1EJPxS1_jEEvDpT3_.private_seg_size, 0
	.set _Z6kernelI14subtract_rightLj256ELj8ELb1EJPxS1_jEEvDpT3_.uses_vcc, 1
	.set _Z6kernelI14subtract_rightLj256ELj8ELb1EJPxS1_jEEvDpT3_.uses_flat_scratch, 0
	.set _Z6kernelI14subtract_rightLj256ELj8ELb1EJPxS1_jEEvDpT3_.has_dyn_sized_stack, 0
	.set _Z6kernelI14subtract_rightLj256ELj8ELb1EJPxS1_jEEvDpT3_.has_recursion, 0
	.set _Z6kernelI14subtract_rightLj256ELj8ELb1EJPxS1_jEEvDpT3_.has_indirect_call, 0
	.section	.AMDGPU.csdata,"",@progbits
; Kernel info:
; codeLenInByte = 736
; TotalNumSgprs: 10
; NumVgprs: 33
; ScratchSize: 0
; MemoryBound: 0
; FloatMode: 240
; IeeeMode: 1
; LDSByteSize: 4096 bytes/workgroup (compile time only)
; SGPRBlocks: 0
; VGPRBlocks: 4
; NumSGPRsForWavesPerEU: 10
; NumVGPRsForWavesPerEU: 33
; Occupancy: 16
; WaveLimiterHint : 1
; COMPUTE_PGM_RSRC2:SCRATCH_EN: 0
; COMPUTE_PGM_RSRC2:USER_SGPR: 2
; COMPUTE_PGM_RSRC2:TRAP_HANDLER: 0
; COMPUTE_PGM_RSRC2:TGID_X_EN: 1
; COMPUTE_PGM_RSRC2:TGID_Y_EN: 0
; COMPUTE_PGM_RSRC2:TGID_Z_EN: 0
; COMPUTE_PGM_RSRC2:TIDIG_COMP_CNT: 0
	.section	.text._Z6kernelI14subtract_rightLj256ELj16ELb1EJPxS1_jEEvDpT3_,"axG",@progbits,_Z6kernelI14subtract_rightLj256ELj16ELb1EJPxS1_jEEvDpT3_,comdat
	.protected	_Z6kernelI14subtract_rightLj256ELj16ELb1EJPxS1_jEEvDpT3_ ; -- Begin function _Z6kernelI14subtract_rightLj256ELj16ELb1EJPxS1_jEEvDpT3_
	.globl	_Z6kernelI14subtract_rightLj256ELj16ELb1EJPxS1_jEEvDpT3_
	.p2align	8
	.type	_Z6kernelI14subtract_rightLj256ELj16ELb1EJPxS1_jEEvDpT3_,@function
_Z6kernelI14subtract_rightLj256ELj16ELb1EJPxS1_jEEvDpT3_: ; @_Z6kernelI14subtract_rightLj256ELj16ELb1EJPxS1_jEEvDpT3_
; %bb.0:
	s_load_b128 s[4:7], s[0:1], 0x0
	s_lshl_b32 s2, ttmp9, 12
	s_mov_b32 s3, 0
	v_lshlrev_b32_e32 v35, 3, v0
	s_lshl_b64 s[2:3], s[2:3], 3
	s_load_b32 s1, s[0:1], 0x10
	s_wait_kmcnt 0x0
	s_add_nc_u64 s[4:5], s[4:5], s[2:3]
	s_clause 0xf
	global_load_b64 v[1:2], v35, s[4:5]
	global_load_b64 v[3:4], v35, s[4:5] offset:2048
	global_load_b64 v[5:6], v35, s[4:5] offset:4096
	;; [unrolled: 1-line block ×15, first 2 shown]
	s_cmp_eq_u32 s1, 0
	s_cbranch_scc1 .LBB112_5
; %bb.1:
	v_cmp_ne_u32_e32 vcc_lo, 0xff, v0
	s_branch .LBB112_3
.LBB112_2:                              ;   in Loop: Header=BB112_3 Depth=1
	s_wait_alu 0xfffe
	s_or_b32 exec_lo, exec_lo, s0
	v_sub_co_u32 v0, s0, v1, v3
	s_wait_alu 0xf1ff
	v_sub_co_ci_u32_e64 v36, null, v2, v4, s0
	v_sub_co_u32 v37, s0, v3, v5
	s_wait_alu 0xf1ff
	v_sub_co_ci_u32_e64 v38, null, v4, v6, s0
	;; [unrolled: 3-line block ×15, first 2 shown]
	s_wait_dscnt 0x0
	v_sub_co_u32 v33, s0, v31, v33
	s_wait_alu 0xf1ff
	v_sub_co_ci_u32_e64 v34, null, v32, v34, s0
	v_add_co_u32 v1, s0, v0, v1
	s_wait_alu 0xf1ff
	v_add_co_ci_u32_e64 v2, null, v36, v2, s0
	v_add_co_u32 v3, s0, v37, v3
	s_wait_alu 0xf1ff
	v_add_co_ci_u32_e64 v4, null, v38, v4, s0
	;; [unrolled: 3-line block ×16, first 2 shown]
	s_add_co_i32 s1, s1, -1
	s_wait_loadcnt 0x0
	s_wait_alu 0xfffe
	s_cmp_lg_u32 s1, 0
	s_barrier_signal -1
	s_barrier_wait -1
	global_inv scope:SCOPE_SE
	s_cbranch_scc0 .LBB112_5
.LBB112_3:                              ; =>This Inner Loop Header: Depth=1
	v_mov_b32_e32 v33, 0x7b
	v_mov_b32_e32 v34, 0
	s_wait_loadcnt 0xf
	ds_store_b64 v35, v[1:2] offset:2048
	s_wait_loadcnt_dscnt 0x0
	s_barrier_signal -1
	s_barrier_wait -1
	global_inv scope:SCOPE_SE
	s_and_saveexec_b32 s0, vcc_lo
	s_cbranch_execz .LBB112_2
; %bb.4:                                ;   in Loop: Header=BB112_3 Depth=1
	ds_load_b64 v[33:34], v35 offset:2056
	s_branch .LBB112_2
.LBB112_5:
	s_add_nc_u64 s[0:1], s[6:7], s[2:3]
	s_wait_loadcnt 0xf
	global_store_b64 v35, v[1:2], s[0:1]
	s_wait_loadcnt 0xe
	global_store_b64 v35, v[3:4], s[0:1] offset:2048
	s_wait_loadcnt 0xd
	global_store_b64 v35, v[5:6], s[0:1] offset:4096
	;; [unrolled: 2-line block ×15, first 2 shown]
	s_endpgm
	.section	.rodata,"a",@progbits
	.p2align	6, 0x0
	.amdhsa_kernel _Z6kernelI14subtract_rightLj256ELj16ELb1EJPxS1_jEEvDpT3_
		.amdhsa_group_segment_fixed_size 4096
		.amdhsa_private_segment_fixed_size 0
		.amdhsa_kernarg_size 20
		.amdhsa_user_sgpr_count 2
		.amdhsa_user_sgpr_dispatch_ptr 0
		.amdhsa_user_sgpr_queue_ptr 0
		.amdhsa_user_sgpr_kernarg_segment_ptr 1
		.amdhsa_user_sgpr_dispatch_id 0
		.amdhsa_user_sgpr_private_segment_size 0
		.amdhsa_wavefront_size32 1
		.amdhsa_uses_dynamic_stack 0
		.amdhsa_enable_private_segment 0
		.amdhsa_system_sgpr_workgroup_id_x 1
		.amdhsa_system_sgpr_workgroup_id_y 0
		.amdhsa_system_sgpr_workgroup_id_z 0
		.amdhsa_system_sgpr_workgroup_info 0
		.amdhsa_system_vgpr_workitem_id 0
		.amdhsa_next_free_vgpr 65
		.amdhsa_next_free_sgpr 8
		.amdhsa_reserve_vcc 1
		.amdhsa_float_round_mode_32 0
		.amdhsa_float_round_mode_16_64 0
		.amdhsa_float_denorm_mode_32 3
		.amdhsa_float_denorm_mode_16_64 3
		.amdhsa_fp16_overflow 0
		.amdhsa_workgroup_processor_mode 1
		.amdhsa_memory_ordered 1
		.amdhsa_forward_progress 1
		.amdhsa_inst_pref_size 10
		.amdhsa_round_robin_scheduling 0
		.amdhsa_exception_fp_ieee_invalid_op 0
		.amdhsa_exception_fp_denorm_src 0
		.amdhsa_exception_fp_ieee_div_zero 0
		.amdhsa_exception_fp_ieee_overflow 0
		.amdhsa_exception_fp_ieee_underflow 0
		.amdhsa_exception_fp_ieee_inexact 0
		.amdhsa_exception_int_div_zero 0
	.end_amdhsa_kernel
	.section	.text._Z6kernelI14subtract_rightLj256ELj16ELb1EJPxS1_jEEvDpT3_,"axG",@progbits,_Z6kernelI14subtract_rightLj256ELj16ELb1EJPxS1_jEEvDpT3_,comdat
.Lfunc_end112:
	.size	_Z6kernelI14subtract_rightLj256ELj16ELb1EJPxS1_jEEvDpT3_, .Lfunc_end112-_Z6kernelI14subtract_rightLj256ELj16ELb1EJPxS1_jEEvDpT3_
                                        ; -- End function
	.set _Z6kernelI14subtract_rightLj256ELj16ELb1EJPxS1_jEEvDpT3_.num_vgpr, 65
	.set _Z6kernelI14subtract_rightLj256ELj16ELb1EJPxS1_jEEvDpT3_.num_agpr, 0
	.set _Z6kernelI14subtract_rightLj256ELj16ELb1EJPxS1_jEEvDpT3_.numbered_sgpr, 8
	.set _Z6kernelI14subtract_rightLj256ELj16ELb1EJPxS1_jEEvDpT3_.num_named_barrier, 0
	.set _Z6kernelI14subtract_rightLj256ELj16ELb1EJPxS1_jEEvDpT3_.private_seg_size, 0
	.set _Z6kernelI14subtract_rightLj256ELj16ELb1EJPxS1_jEEvDpT3_.uses_vcc, 1
	.set _Z6kernelI14subtract_rightLj256ELj16ELb1EJPxS1_jEEvDpT3_.uses_flat_scratch, 0
	.set _Z6kernelI14subtract_rightLj256ELj16ELb1EJPxS1_jEEvDpT3_.has_dyn_sized_stack, 0
	.set _Z6kernelI14subtract_rightLj256ELj16ELb1EJPxS1_jEEvDpT3_.has_recursion, 0
	.set _Z6kernelI14subtract_rightLj256ELj16ELb1EJPxS1_jEEvDpT3_.has_indirect_call, 0
	.section	.AMDGPU.csdata,"",@progbits
; Kernel info:
; codeLenInByte = 1280
; TotalNumSgprs: 10
; NumVgprs: 65
; ScratchSize: 0
; MemoryBound: 0
; FloatMode: 240
; IeeeMode: 1
; LDSByteSize: 4096 bytes/workgroup (compile time only)
; SGPRBlocks: 0
; VGPRBlocks: 8
; NumSGPRsForWavesPerEU: 10
; NumVGPRsForWavesPerEU: 65
; Occupancy: 16
; WaveLimiterHint : 1
; COMPUTE_PGM_RSRC2:SCRATCH_EN: 0
; COMPUTE_PGM_RSRC2:USER_SGPR: 2
; COMPUTE_PGM_RSRC2:TRAP_HANDLER: 0
; COMPUTE_PGM_RSRC2:TGID_X_EN: 1
; COMPUTE_PGM_RSRC2:TGID_Y_EN: 0
; COMPUTE_PGM_RSRC2:TGID_Z_EN: 0
; COMPUTE_PGM_RSRC2:TIDIG_COMP_CNT: 0
	.section	.text._Z6kernelI14subtract_rightLj256ELj32ELb1EJPxS1_jEEvDpT3_,"axG",@progbits,_Z6kernelI14subtract_rightLj256ELj32ELb1EJPxS1_jEEvDpT3_,comdat
	.protected	_Z6kernelI14subtract_rightLj256ELj32ELb1EJPxS1_jEEvDpT3_ ; -- Begin function _Z6kernelI14subtract_rightLj256ELj32ELb1EJPxS1_jEEvDpT3_
	.globl	_Z6kernelI14subtract_rightLj256ELj32ELb1EJPxS1_jEEvDpT3_
	.p2align	8
	.type	_Z6kernelI14subtract_rightLj256ELj32ELb1EJPxS1_jEEvDpT3_,@function
_Z6kernelI14subtract_rightLj256ELj32ELb1EJPxS1_jEEvDpT3_: ; @_Z6kernelI14subtract_rightLj256ELj32ELb1EJPxS1_jEEvDpT3_
; %bb.0:
	s_load_b128 s[4:7], s[0:1], 0x0
	s_lshl_b32 s2, ttmp9, 13
	s_mov_b32 s3, 0
	v_lshlrev_b32_e32 v67, 3, v0
	s_lshl_b64 s[2:3], s[2:3], 3
	s_load_b32 s1, s[0:1], 0x10
	s_wait_kmcnt 0x0
	s_add_nc_u64 s[4:5], s[4:5], s[2:3]
	s_clause 0x1f
	global_load_b64 v[1:2], v67, s[4:5]
	global_load_b64 v[3:4], v67, s[4:5] offset:2048
	global_load_b64 v[5:6], v67, s[4:5] offset:4096
	;; [unrolled: 1-line block ×31, first 2 shown]
	s_cmp_eq_u32 s1, 0
	s_cbranch_scc1 .LBB113_5
; %bb.1:
	v_cmp_ne_u32_e32 vcc_lo, 0xff, v0
	s_branch .LBB113_3
.LBB113_2:                              ;   in Loop: Header=BB113_3 Depth=1
	s_wait_alu 0xfffe
	s_or_b32 exec_lo, exec_lo, s0
	v_sub_co_u32 v0, s0, v1, v3
	s_wait_alu 0xf1ff
	v_sub_co_ci_u32_e64 v68, null, v2, v4, s0
	v_sub_co_u32 v69, s0, v3, v5
	s_wait_alu 0xf1ff
	v_sub_co_ci_u32_e64 v70, null, v4, v6, s0
	;; [unrolled: 3-line block ×12, first 2 shown]
	s_wait_dscnt 0x0
	v_sub_co_u32 v65, s0, v63, v65
	s_wait_alu 0xf1ff
	v_sub_co_ci_u32_e64 v66, null, v64, v66, s0
	v_sub_co_u32 v91, s0, v25, v27
	s_wait_alu 0xf1ff
	v_sub_co_ci_u32_e64 v92, null, v26, v28, s0
	v_add_co_u32 v1, s0, v0, v1
	s_wait_alu 0xf1ff
	v_add_co_ci_u32_e64 v2, null, v68, v2, s0
	v_sub_co_u32 v0, s0, v27, v29
	s_wait_alu 0xf1ff
	v_sub_co_ci_u32_e64 v68, null, v28, v30, s0
	v_add_co_u32 v3, s0, v69, v3
	s_wait_alu 0xf1ff
	v_add_co_ci_u32_e64 v4, null, v70, v4, s0
	v_sub_co_u32 v69, s0, v29, v31
	s_wait_alu 0xf1ff
	v_sub_co_ci_u32_e64 v70, null, v30, v32, s0
	v_add_co_u32 v5, s0, v71, v5
	s_wait_alu 0xf1ff
	v_add_co_ci_u32_e64 v6, null, v72, v6, s0
	v_sub_co_u32 v71, s0, v31, v33
	s_wait_alu 0xf1ff
	v_sub_co_ci_u32_e64 v72, null, v32, v34, s0
	v_add_co_u32 v7, s0, v73, v7
	s_wait_alu 0xf1ff
	v_add_co_ci_u32_e64 v8, null, v74, v8, s0
	v_sub_co_u32 v73, s0, v33, v35
	s_wait_alu 0xf1ff
	v_sub_co_ci_u32_e64 v74, null, v34, v36, s0
	v_add_co_u32 v9, s0, v75, v9
	s_wait_alu 0xf1ff
	v_add_co_ci_u32_e64 v10, null, v76, v10, s0
	v_sub_co_u32 v75, s0, v35, v37
	s_wait_alu 0xf1ff
	v_sub_co_ci_u32_e64 v76, null, v36, v38, s0
	v_add_co_u32 v11, s0, v77, v11
	s_wait_alu 0xf1ff
	v_add_co_ci_u32_e64 v12, null, v78, v12, s0
	v_sub_co_u32 v77, s0, v37, v39
	s_wait_alu 0xf1ff
	v_sub_co_ci_u32_e64 v78, null, v38, v40, s0
	v_add_co_u32 v13, s0, v79, v13
	s_wait_alu 0xf1ff
	v_add_co_ci_u32_e64 v14, null, v80, v14, s0
	v_sub_co_u32 v79, s0, v39, v41
	s_wait_alu 0xf1ff
	v_sub_co_ci_u32_e64 v80, null, v40, v42, s0
	v_add_co_u32 v15, s0, v81, v15
	s_wait_alu 0xf1ff
	v_add_co_ci_u32_e64 v16, null, v82, v16, s0
	v_sub_co_u32 v81, s0, v41, v43
	s_wait_alu 0xf1ff
	v_sub_co_ci_u32_e64 v82, null, v42, v44, s0
	v_add_co_u32 v17, s0, v83, v17
	s_wait_alu 0xf1ff
	v_add_co_ci_u32_e64 v18, null, v84, v18, s0
	v_sub_co_u32 v83, s0, v43, v45
	s_wait_alu 0xf1ff
	v_sub_co_ci_u32_e64 v84, null, v44, v46, s0
	v_add_co_u32 v19, s0, v85, v19
	s_wait_alu 0xf1ff
	v_add_co_ci_u32_e64 v20, null, v86, v20, s0
	v_sub_co_u32 v85, s0, v45, v47
	s_wait_alu 0xf1ff
	v_sub_co_ci_u32_e64 v86, null, v46, v48, s0
	v_add_co_u32 v21, s0, v87, v21
	s_wait_alu 0xf1ff
	v_add_co_ci_u32_e64 v22, null, v88, v22, s0
	v_sub_co_u32 v87, s0, v47, v49
	s_wait_alu 0xf1ff
	v_sub_co_ci_u32_e64 v88, null, v48, v50, s0
	v_add_co_u32 v23, s0, v89, v23
	s_wait_alu 0xf1ff
	v_add_co_ci_u32_e64 v24, null, v90, v24, s0
	v_sub_co_u32 v89, s0, v49, v51
	s_wait_alu 0xf1ff
	v_sub_co_ci_u32_e64 v90, null, v50, v52, s0
	v_add_co_u32 v25, s0, v91, v25
	s_wait_alu 0xf1ff
	v_add_co_ci_u32_e64 v26, null, v92, v26, s0
	v_sub_co_u32 v91, s0, v51, v53
	s_wait_alu 0xf1ff
	v_sub_co_ci_u32_e64 v92, null, v52, v54, s0
	v_add_co_u32 v27, s0, v0, v27
	s_wait_alu 0xf1ff
	v_add_co_ci_u32_e64 v28, null, v68, v28, s0
	v_sub_co_u32 v0, s0, v53, v55
	s_wait_alu 0xf1ff
	v_sub_co_ci_u32_e64 v68, null, v54, v56, s0
	v_add_co_u32 v29, s0, v69, v29
	s_wait_alu 0xf1ff
	v_add_co_ci_u32_e64 v30, null, v70, v30, s0
	v_sub_co_u32 v69, s0, v55, v57
	s_wait_alu 0xf1ff
	v_sub_co_ci_u32_e64 v70, null, v56, v58, s0
	v_add_co_u32 v31, s0, v71, v31
	s_wait_alu 0xf1ff
	v_add_co_ci_u32_e64 v32, null, v72, v32, s0
	v_sub_co_u32 v71, s0, v57, v59
	s_wait_alu 0xf1ff
	v_sub_co_ci_u32_e64 v72, null, v58, v60, s0
	v_add_co_u32 v33, s0, v73, v33
	s_wait_alu 0xf1ff
	v_add_co_ci_u32_e64 v34, null, v74, v34, s0
	v_sub_co_u32 v73, s0, v59, v61
	s_wait_alu 0xf1ff
	v_sub_co_ci_u32_e64 v74, null, v60, v62, s0
	v_add_co_u32 v35, s0, v75, v35
	s_wait_alu 0xf1ff
	v_add_co_ci_u32_e64 v36, null, v76, v36, s0
	v_sub_co_u32 v75, s0, v61, v63
	s_wait_alu 0xf1ff
	v_sub_co_ci_u32_e64 v76, null, v62, v64, s0
	v_add_co_u32 v37, s0, v77, v37
	s_wait_alu 0xf1ff
	v_add_co_ci_u32_e64 v38, null, v78, v38, s0
	v_add_co_u32 v39, s0, v79, v39
	s_wait_alu 0xf1ff
	v_add_co_ci_u32_e64 v40, null, v80, v40, s0
	v_add_co_u32 v41, s0, v81, v41
	s_wait_alu 0xf1ff
	v_add_co_ci_u32_e64 v42, null, v82, v42, s0
	;; [unrolled: 3-line block ×13, first 2 shown]
	s_add_co_i32 s1, s1, -1
	s_wait_loadcnt 0x0
	s_wait_alu 0xfffe
	s_cmp_lg_u32 s1, 0
	s_barrier_signal -1
	s_barrier_wait -1
	global_inv scope:SCOPE_SE
	s_cbranch_scc0 .LBB113_5
.LBB113_3:                              ; =>This Inner Loop Header: Depth=1
	v_mov_b32_e32 v65, 0x7b
	v_mov_b32_e32 v66, 0
	s_wait_loadcnt 0x1f
	ds_store_b64 v67, v[1:2] offset:2048
	s_wait_loadcnt_dscnt 0x0
	s_barrier_signal -1
	s_barrier_wait -1
	global_inv scope:SCOPE_SE
	s_and_saveexec_b32 s0, vcc_lo
	s_cbranch_execz .LBB113_2
; %bb.4:                                ;   in Loop: Header=BB113_3 Depth=1
	ds_load_b64 v[65:66], v67 offset:2056
	s_branch .LBB113_2
.LBB113_5:
	s_add_nc_u64 s[0:1], s[6:7], s[2:3]
	s_wait_loadcnt 0x1f
	global_store_b64 v67, v[1:2], s[0:1]
	s_wait_loadcnt 0x1e
	global_store_b64 v67, v[3:4], s[0:1] offset:2048
	s_wait_loadcnt 0x1d
	global_store_b64 v67, v[5:6], s[0:1] offset:4096
	;; [unrolled: 2-line block ×31, first 2 shown]
	s_endpgm
	.section	.rodata,"a",@progbits
	.p2align	6, 0x0
	.amdhsa_kernel _Z6kernelI14subtract_rightLj256ELj32ELb1EJPxS1_jEEvDpT3_
		.amdhsa_group_segment_fixed_size 4096
		.amdhsa_private_segment_fixed_size 0
		.amdhsa_kernarg_size 20
		.amdhsa_user_sgpr_count 2
		.amdhsa_user_sgpr_dispatch_ptr 0
		.amdhsa_user_sgpr_queue_ptr 0
		.amdhsa_user_sgpr_kernarg_segment_ptr 1
		.amdhsa_user_sgpr_dispatch_id 0
		.amdhsa_user_sgpr_private_segment_size 0
		.amdhsa_wavefront_size32 1
		.amdhsa_uses_dynamic_stack 0
		.amdhsa_enable_private_segment 0
		.amdhsa_system_sgpr_workgroup_id_x 1
		.amdhsa_system_sgpr_workgroup_id_y 0
		.amdhsa_system_sgpr_workgroup_id_z 0
		.amdhsa_system_sgpr_workgroup_info 0
		.amdhsa_system_vgpr_workitem_id 0
		.amdhsa_next_free_vgpr 93
		.amdhsa_next_free_sgpr 8
		.amdhsa_reserve_vcc 1
		.amdhsa_float_round_mode_32 0
		.amdhsa_float_round_mode_16_64 0
		.amdhsa_float_denorm_mode_32 3
		.amdhsa_float_denorm_mode_16_64 3
		.amdhsa_fp16_overflow 0
		.amdhsa_workgroup_processor_mode 1
		.amdhsa_memory_ordered 1
		.amdhsa_forward_progress 1
		.amdhsa_inst_pref_size 19
		.amdhsa_round_robin_scheduling 0
		.amdhsa_exception_fp_ieee_invalid_op 0
		.amdhsa_exception_fp_denorm_src 0
		.amdhsa_exception_fp_ieee_div_zero 0
		.amdhsa_exception_fp_ieee_overflow 0
		.amdhsa_exception_fp_ieee_underflow 0
		.amdhsa_exception_fp_ieee_inexact 0
		.amdhsa_exception_int_div_zero 0
	.end_amdhsa_kernel
	.section	.text._Z6kernelI14subtract_rightLj256ELj32ELb1EJPxS1_jEEvDpT3_,"axG",@progbits,_Z6kernelI14subtract_rightLj256ELj32ELb1EJPxS1_jEEvDpT3_,comdat
.Lfunc_end113:
	.size	_Z6kernelI14subtract_rightLj256ELj32ELb1EJPxS1_jEEvDpT3_, .Lfunc_end113-_Z6kernelI14subtract_rightLj256ELj32ELb1EJPxS1_jEEvDpT3_
                                        ; -- End function
	.set _Z6kernelI14subtract_rightLj256ELj32ELb1EJPxS1_jEEvDpT3_.num_vgpr, 93
	.set _Z6kernelI14subtract_rightLj256ELj32ELb1EJPxS1_jEEvDpT3_.num_agpr, 0
	.set _Z6kernelI14subtract_rightLj256ELj32ELb1EJPxS1_jEEvDpT3_.numbered_sgpr, 8
	.set _Z6kernelI14subtract_rightLj256ELj32ELb1EJPxS1_jEEvDpT3_.num_named_barrier, 0
	.set _Z6kernelI14subtract_rightLj256ELj32ELb1EJPxS1_jEEvDpT3_.private_seg_size, 0
	.set _Z6kernelI14subtract_rightLj256ELj32ELb1EJPxS1_jEEvDpT3_.uses_vcc, 1
	.set _Z6kernelI14subtract_rightLj256ELj32ELb1EJPxS1_jEEvDpT3_.uses_flat_scratch, 0
	.set _Z6kernelI14subtract_rightLj256ELj32ELb1EJPxS1_jEEvDpT3_.has_dyn_sized_stack, 0
	.set _Z6kernelI14subtract_rightLj256ELj32ELb1EJPxS1_jEEvDpT3_.has_recursion, 0
	.set _Z6kernelI14subtract_rightLj256ELj32ELb1EJPxS1_jEEvDpT3_.has_indirect_call, 0
	.section	.AMDGPU.csdata,"",@progbits
; Kernel info:
; codeLenInByte = 2368
; TotalNumSgprs: 10
; NumVgprs: 93
; ScratchSize: 0
; MemoryBound: 0
; FloatMode: 240
; IeeeMode: 1
; LDSByteSize: 4096 bytes/workgroup (compile time only)
; SGPRBlocks: 0
; VGPRBlocks: 11
; NumSGPRsForWavesPerEU: 10
; NumVGPRsForWavesPerEU: 93
; Occupancy: 16
; WaveLimiterHint : 1
; COMPUTE_PGM_RSRC2:SCRATCH_EN: 0
; COMPUTE_PGM_RSRC2:USER_SGPR: 2
; COMPUTE_PGM_RSRC2:TRAP_HANDLER: 0
; COMPUTE_PGM_RSRC2:TGID_X_EN: 1
; COMPUTE_PGM_RSRC2:TGID_Y_EN: 0
; COMPUTE_PGM_RSRC2:TGID_Z_EN: 0
; COMPUTE_PGM_RSRC2:TIDIG_COMP_CNT: 0
	.section	.text._Z6kernelI14subtract_rightLj256ELj1ELb1EJPdS1_jEEvDpT3_,"axG",@progbits,_Z6kernelI14subtract_rightLj256ELj1ELb1EJPdS1_jEEvDpT3_,comdat
	.protected	_Z6kernelI14subtract_rightLj256ELj1ELb1EJPdS1_jEEvDpT3_ ; -- Begin function _Z6kernelI14subtract_rightLj256ELj1ELb1EJPdS1_jEEvDpT3_
	.globl	_Z6kernelI14subtract_rightLj256ELj1ELb1EJPdS1_jEEvDpT3_
	.p2align	8
	.type	_Z6kernelI14subtract_rightLj256ELj1ELb1EJPdS1_jEEvDpT3_,@function
_Z6kernelI14subtract_rightLj256ELj1ELb1EJPdS1_jEEvDpT3_: ; @_Z6kernelI14subtract_rightLj256ELj1ELb1EJPdS1_jEEvDpT3_
; %bb.0:
	s_load_b128 s[4:7], s[0:1], 0x0
	s_lshl_b32 s2, ttmp9, 8
	s_mov_b32 s3, 0
	v_lshlrev_b32_e32 v5, 3, v0
	s_lshl_b64 s[2:3], s[2:3], 3
	s_load_b32 s0, s[0:1], 0x10
	s_wait_kmcnt 0x0
	s_add_nc_u64 s[4:5], s[4:5], s[2:3]
	global_load_b64 v[1:2], v5, s[4:5]
	s_cmp_eq_u32 s0, 0
	s_cbranch_scc1 .LBB114_5
; %bb.1:
	v_cmp_ne_u32_e32 vcc_lo, 0xff, v0
	s_branch .LBB114_3
.LBB114_2:                              ;   in Loop: Header=BB114_3 Depth=1
	s_or_b32 exec_lo, exec_lo, s1
	s_wait_dscnt 0x0
	v_add_f64_e64 v[3:4], v[1:2], -v[3:4]
	s_add_co_i32 s0, s0, -1
	s_wait_loadcnt 0x0
	s_cmp_lg_u32 s0, 0
	s_barrier_signal -1
	s_barrier_wait -1
	global_inv scope:SCOPE_SE
	v_add_f64_e32 v[1:2], v[1:2], v[3:4]
	s_cbranch_scc0 .LBB114_5
.LBB114_3:                              ; =>This Inner Loop Header: Depth=1
	v_mov_b32_e32 v3, 0
	v_mov_b32_e32 v4, 0x405ec000
	s_wait_loadcnt 0x0
	ds_store_b64 v5, v[1:2] offset:2048
	s_wait_dscnt 0x0
	s_barrier_signal -1
	s_barrier_wait -1
	global_inv scope:SCOPE_SE
	s_and_saveexec_b32 s1, vcc_lo
	s_cbranch_execz .LBB114_2
; %bb.4:                                ;   in Loop: Header=BB114_3 Depth=1
	ds_load_b64 v[3:4], v5 offset:2056
	s_branch .LBB114_2
.LBB114_5:
	s_add_nc_u64 s[0:1], s[6:7], s[2:3]
	s_wait_loadcnt 0x0
	global_store_b64 v5, v[1:2], s[0:1]
	s_endpgm
	.section	.rodata,"a",@progbits
	.p2align	6, 0x0
	.amdhsa_kernel _Z6kernelI14subtract_rightLj256ELj1ELb1EJPdS1_jEEvDpT3_
		.amdhsa_group_segment_fixed_size 4096
		.amdhsa_private_segment_fixed_size 0
		.amdhsa_kernarg_size 20
		.amdhsa_user_sgpr_count 2
		.amdhsa_user_sgpr_dispatch_ptr 0
		.amdhsa_user_sgpr_queue_ptr 0
		.amdhsa_user_sgpr_kernarg_segment_ptr 1
		.amdhsa_user_sgpr_dispatch_id 0
		.amdhsa_user_sgpr_private_segment_size 0
		.amdhsa_wavefront_size32 1
		.amdhsa_uses_dynamic_stack 0
		.amdhsa_enable_private_segment 0
		.amdhsa_system_sgpr_workgroup_id_x 1
		.amdhsa_system_sgpr_workgroup_id_y 0
		.amdhsa_system_sgpr_workgroup_id_z 0
		.amdhsa_system_sgpr_workgroup_info 0
		.amdhsa_system_vgpr_workitem_id 0
		.amdhsa_next_free_vgpr 6
		.amdhsa_next_free_sgpr 8
		.amdhsa_reserve_vcc 1
		.amdhsa_float_round_mode_32 0
		.amdhsa_float_round_mode_16_64 0
		.amdhsa_float_denorm_mode_32 3
		.amdhsa_float_denorm_mode_16_64 3
		.amdhsa_fp16_overflow 0
		.amdhsa_workgroup_processor_mode 1
		.amdhsa_memory_ordered 1
		.amdhsa_forward_progress 1
		.amdhsa_inst_pref_size 2
		.amdhsa_round_robin_scheduling 0
		.amdhsa_exception_fp_ieee_invalid_op 0
		.amdhsa_exception_fp_denorm_src 0
		.amdhsa_exception_fp_ieee_div_zero 0
		.amdhsa_exception_fp_ieee_overflow 0
		.amdhsa_exception_fp_ieee_underflow 0
		.amdhsa_exception_fp_ieee_inexact 0
		.amdhsa_exception_int_div_zero 0
	.end_amdhsa_kernel
	.section	.text._Z6kernelI14subtract_rightLj256ELj1ELb1EJPdS1_jEEvDpT3_,"axG",@progbits,_Z6kernelI14subtract_rightLj256ELj1ELb1EJPdS1_jEEvDpT3_,comdat
.Lfunc_end114:
	.size	_Z6kernelI14subtract_rightLj256ELj1ELb1EJPdS1_jEEvDpT3_, .Lfunc_end114-_Z6kernelI14subtract_rightLj256ELj1ELb1EJPdS1_jEEvDpT3_
                                        ; -- End function
	.set _Z6kernelI14subtract_rightLj256ELj1ELb1EJPdS1_jEEvDpT3_.num_vgpr, 6
	.set _Z6kernelI14subtract_rightLj256ELj1ELb1EJPdS1_jEEvDpT3_.num_agpr, 0
	.set _Z6kernelI14subtract_rightLj256ELj1ELb1EJPdS1_jEEvDpT3_.numbered_sgpr, 8
	.set _Z6kernelI14subtract_rightLj256ELj1ELb1EJPdS1_jEEvDpT3_.num_named_barrier, 0
	.set _Z6kernelI14subtract_rightLj256ELj1ELb1EJPdS1_jEEvDpT3_.private_seg_size, 0
	.set _Z6kernelI14subtract_rightLj256ELj1ELb1EJPdS1_jEEvDpT3_.uses_vcc, 1
	.set _Z6kernelI14subtract_rightLj256ELj1ELb1EJPdS1_jEEvDpT3_.uses_flat_scratch, 0
	.set _Z6kernelI14subtract_rightLj256ELj1ELb1EJPdS1_jEEvDpT3_.has_dyn_sized_stack, 0
	.set _Z6kernelI14subtract_rightLj256ELj1ELb1EJPdS1_jEEvDpT3_.has_recursion, 0
	.set _Z6kernelI14subtract_rightLj256ELj1ELb1EJPdS1_jEEvDpT3_.has_indirect_call, 0
	.section	.AMDGPU.csdata,"",@progbits
; Kernel info:
; codeLenInByte = 220
; TotalNumSgprs: 10
; NumVgprs: 6
; ScratchSize: 0
; MemoryBound: 0
; FloatMode: 240
; IeeeMode: 1
; LDSByteSize: 4096 bytes/workgroup (compile time only)
; SGPRBlocks: 0
; VGPRBlocks: 0
; NumSGPRsForWavesPerEU: 10
; NumVGPRsForWavesPerEU: 6
; Occupancy: 16
; WaveLimiterHint : 0
; COMPUTE_PGM_RSRC2:SCRATCH_EN: 0
; COMPUTE_PGM_RSRC2:USER_SGPR: 2
; COMPUTE_PGM_RSRC2:TRAP_HANDLER: 0
; COMPUTE_PGM_RSRC2:TGID_X_EN: 1
; COMPUTE_PGM_RSRC2:TGID_Y_EN: 0
; COMPUTE_PGM_RSRC2:TGID_Z_EN: 0
; COMPUTE_PGM_RSRC2:TIDIG_COMP_CNT: 0
	.section	.text._Z6kernelI14subtract_rightLj256ELj3ELb1EJPdS1_jEEvDpT3_,"axG",@progbits,_Z6kernelI14subtract_rightLj256ELj3ELb1EJPdS1_jEEvDpT3_,comdat
	.protected	_Z6kernelI14subtract_rightLj256ELj3ELb1EJPdS1_jEEvDpT3_ ; -- Begin function _Z6kernelI14subtract_rightLj256ELj3ELb1EJPdS1_jEEvDpT3_
	.globl	_Z6kernelI14subtract_rightLj256ELj3ELb1EJPdS1_jEEvDpT3_
	.p2align	8
	.type	_Z6kernelI14subtract_rightLj256ELj3ELb1EJPdS1_jEEvDpT3_,@function
_Z6kernelI14subtract_rightLj256ELj3ELb1EJPdS1_jEEvDpT3_: ; @_Z6kernelI14subtract_rightLj256ELj3ELb1EJPdS1_jEEvDpT3_
; %bb.0:
	s_load_b128 s[4:7], s[0:1], 0x0
	s_mul_i32 s2, ttmp9, 0x300
	s_mov_b32 s3, 0
	v_lshlrev_b32_e32 v9, 3, v0
	s_lshl_b64 s[2:3], s[2:3], 3
	s_load_b32 s0, s[0:1], 0x10
	s_wait_kmcnt 0x0
	s_add_nc_u64 s[4:5], s[4:5], s[2:3]
	s_clause 0x2
	global_load_b64 v[5:6], v9, s[4:5]
	global_load_b64 v[3:4], v9, s[4:5] offset:2048
	global_load_b64 v[1:2], v9, s[4:5] offset:4096
	s_cmp_eq_u32 s0, 0
	s_cbranch_scc1 .LBB115_5
; %bb.1:
	v_cmp_ne_u32_e32 vcc_lo, 0xff, v0
	s_branch .LBB115_3
.LBB115_2:                              ;   in Loop: Header=BB115_3 Depth=1
	s_or_b32 exec_lo, exec_lo, s1
	v_add_f64_e64 v[10:11], v[5:6], -v[3:4]
	v_add_f64_e64 v[12:13], v[3:4], -v[1:2]
	s_wait_dscnt 0x0
	v_add_f64_e64 v[7:8], v[1:2], -v[7:8]
	s_add_co_i32 s0, s0, -1
	s_wait_loadcnt 0x0
	s_cmp_lg_u32 s0, 0
	s_barrier_signal -1
	s_barrier_wait -1
	global_inv scope:SCOPE_SE
	v_add_f64_e32 v[5:6], v[5:6], v[10:11]
	v_add_f64_e32 v[3:4], v[3:4], v[12:13]
	;; [unrolled: 1-line block ×3, first 2 shown]
	s_cbranch_scc0 .LBB115_5
.LBB115_3:                              ; =>This Inner Loop Header: Depth=1
	v_mov_b32_e32 v7, 0
	v_mov_b32_e32 v8, 0x405ec000
	s_wait_loadcnt 0x2
	ds_store_b64 v9, v[5:6] offset:2048
	s_wait_loadcnt_dscnt 0x0
	s_barrier_signal -1
	s_barrier_wait -1
	global_inv scope:SCOPE_SE
	s_and_saveexec_b32 s1, vcc_lo
	s_cbranch_execz .LBB115_2
; %bb.4:                                ;   in Loop: Header=BB115_3 Depth=1
	ds_load_b64 v[7:8], v9 offset:2056
	s_branch .LBB115_2
.LBB115_5:
	s_add_nc_u64 s[0:1], s[6:7], s[2:3]
	s_wait_loadcnt 0x2
	global_store_b64 v9, v[5:6], s[0:1]
	s_wait_loadcnt 0x1
	global_store_b64 v9, v[3:4], s[0:1] offset:2048
	s_wait_loadcnt 0x0
	global_store_b64 v9, v[1:2], s[0:1] offset:4096
	s_endpgm
	.section	.rodata,"a",@progbits
	.p2align	6, 0x0
	.amdhsa_kernel _Z6kernelI14subtract_rightLj256ELj3ELb1EJPdS1_jEEvDpT3_
		.amdhsa_group_segment_fixed_size 4096
		.amdhsa_private_segment_fixed_size 0
		.amdhsa_kernarg_size 20
		.amdhsa_user_sgpr_count 2
		.amdhsa_user_sgpr_dispatch_ptr 0
		.amdhsa_user_sgpr_queue_ptr 0
		.amdhsa_user_sgpr_kernarg_segment_ptr 1
		.amdhsa_user_sgpr_dispatch_id 0
		.amdhsa_user_sgpr_private_segment_size 0
		.amdhsa_wavefront_size32 1
		.amdhsa_uses_dynamic_stack 0
		.amdhsa_enable_private_segment 0
		.amdhsa_system_sgpr_workgroup_id_x 1
		.amdhsa_system_sgpr_workgroup_id_y 0
		.amdhsa_system_sgpr_workgroup_id_z 0
		.amdhsa_system_sgpr_workgroup_info 0
		.amdhsa_system_vgpr_workitem_id 0
		.amdhsa_next_free_vgpr 14
		.amdhsa_next_free_sgpr 8
		.amdhsa_reserve_vcc 1
		.amdhsa_float_round_mode_32 0
		.amdhsa_float_round_mode_16_64 0
		.amdhsa_float_denorm_mode_32 3
		.amdhsa_float_denorm_mode_16_64 3
		.amdhsa_fp16_overflow 0
		.amdhsa_workgroup_processor_mode 1
		.amdhsa_memory_ordered 1
		.amdhsa_forward_progress 1
		.amdhsa_inst_pref_size 3
		.amdhsa_round_robin_scheduling 0
		.amdhsa_exception_fp_ieee_invalid_op 0
		.amdhsa_exception_fp_denorm_src 0
		.amdhsa_exception_fp_ieee_div_zero 0
		.amdhsa_exception_fp_ieee_overflow 0
		.amdhsa_exception_fp_ieee_underflow 0
		.amdhsa_exception_fp_ieee_inexact 0
		.amdhsa_exception_int_div_zero 0
	.end_amdhsa_kernel
	.section	.text._Z6kernelI14subtract_rightLj256ELj3ELb1EJPdS1_jEEvDpT3_,"axG",@progbits,_Z6kernelI14subtract_rightLj256ELj3ELb1EJPdS1_jEEvDpT3_,comdat
.Lfunc_end115:
	.size	_Z6kernelI14subtract_rightLj256ELj3ELb1EJPdS1_jEEvDpT3_, .Lfunc_end115-_Z6kernelI14subtract_rightLj256ELj3ELb1EJPdS1_jEEvDpT3_
                                        ; -- End function
	.set _Z6kernelI14subtract_rightLj256ELj3ELb1EJPdS1_jEEvDpT3_.num_vgpr, 14
	.set _Z6kernelI14subtract_rightLj256ELj3ELb1EJPdS1_jEEvDpT3_.num_agpr, 0
	.set _Z6kernelI14subtract_rightLj256ELj3ELb1EJPdS1_jEEvDpT3_.numbered_sgpr, 8
	.set _Z6kernelI14subtract_rightLj256ELj3ELb1EJPdS1_jEEvDpT3_.num_named_barrier, 0
	.set _Z6kernelI14subtract_rightLj256ELj3ELb1EJPdS1_jEEvDpT3_.private_seg_size, 0
	.set _Z6kernelI14subtract_rightLj256ELj3ELb1EJPdS1_jEEvDpT3_.uses_vcc, 1
	.set _Z6kernelI14subtract_rightLj256ELj3ELb1EJPdS1_jEEvDpT3_.uses_flat_scratch, 0
	.set _Z6kernelI14subtract_rightLj256ELj3ELb1EJPdS1_jEEvDpT3_.has_dyn_sized_stack, 0
	.set _Z6kernelI14subtract_rightLj256ELj3ELb1EJPdS1_jEEvDpT3_.has_recursion, 0
	.set _Z6kernelI14subtract_rightLj256ELj3ELb1EJPdS1_jEEvDpT3_.has_indirect_call, 0
	.section	.AMDGPU.csdata,"",@progbits
; Kernel info:
; codeLenInByte = 308
; TotalNumSgprs: 10
; NumVgprs: 14
; ScratchSize: 0
; MemoryBound: 0
; FloatMode: 240
; IeeeMode: 1
; LDSByteSize: 4096 bytes/workgroup (compile time only)
; SGPRBlocks: 0
; VGPRBlocks: 1
; NumSGPRsForWavesPerEU: 10
; NumVGPRsForWavesPerEU: 14
; Occupancy: 16
; WaveLimiterHint : 1
; COMPUTE_PGM_RSRC2:SCRATCH_EN: 0
; COMPUTE_PGM_RSRC2:USER_SGPR: 2
; COMPUTE_PGM_RSRC2:TRAP_HANDLER: 0
; COMPUTE_PGM_RSRC2:TGID_X_EN: 1
; COMPUTE_PGM_RSRC2:TGID_Y_EN: 0
; COMPUTE_PGM_RSRC2:TGID_Z_EN: 0
; COMPUTE_PGM_RSRC2:TIDIG_COMP_CNT: 0
	.section	.text._Z6kernelI14subtract_rightLj256ELj4ELb1EJPdS1_jEEvDpT3_,"axG",@progbits,_Z6kernelI14subtract_rightLj256ELj4ELb1EJPdS1_jEEvDpT3_,comdat
	.protected	_Z6kernelI14subtract_rightLj256ELj4ELb1EJPdS1_jEEvDpT3_ ; -- Begin function _Z6kernelI14subtract_rightLj256ELj4ELb1EJPdS1_jEEvDpT3_
	.globl	_Z6kernelI14subtract_rightLj256ELj4ELb1EJPdS1_jEEvDpT3_
	.p2align	8
	.type	_Z6kernelI14subtract_rightLj256ELj4ELb1EJPdS1_jEEvDpT3_,@function
_Z6kernelI14subtract_rightLj256ELj4ELb1EJPdS1_jEEvDpT3_: ; @_Z6kernelI14subtract_rightLj256ELj4ELb1EJPdS1_jEEvDpT3_
; %bb.0:
	s_load_b128 s[4:7], s[0:1], 0x0
	s_lshl_b32 s2, ttmp9, 10
	s_mov_b32 s3, 0
	v_lshlrev_b32_e32 v11, 3, v0
	s_lshl_b64 s[2:3], s[2:3], 3
	s_load_b32 s0, s[0:1], 0x10
	s_wait_kmcnt 0x0
	s_add_nc_u64 s[4:5], s[4:5], s[2:3]
	s_clause 0x3
	global_load_b64 v[7:8], v11, s[4:5]
	global_load_b64 v[5:6], v11, s[4:5] offset:2048
	global_load_b64 v[3:4], v11, s[4:5] offset:4096
	;; [unrolled: 1-line block ×3, first 2 shown]
	s_cmp_eq_u32 s0, 0
	s_cbranch_scc1 .LBB116_5
; %bb.1:
	v_cmp_ne_u32_e32 vcc_lo, 0xff, v0
	s_branch .LBB116_3
.LBB116_2:                              ;   in Loop: Header=BB116_3 Depth=1
	s_or_b32 exec_lo, exec_lo, s1
	v_add_f64_e64 v[12:13], v[7:8], -v[5:6]
	v_add_f64_e64 v[14:15], v[5:6], -v[3:4]
	v_add_f64_e64 v[16:17], v[3:4], -v[1:2]
	s_wait_dscnt 0x0
	v_add_f64_e64 v[9:10], v[1:2], -v[9:10]
	s_add_co_i32 s0, s0, -1
	s_wait_loadcnt 0x0
	s_cmp_lg_u32 s0, 0
	s_barrier_signal -1
	s_barrier_wait -1
	global_inv scope:SCOPE_SE
	v_add_f64_e32 v[7:8], v[7:8], v[12:13]
	v_add_f64_e32 v[5:6], v[5:6], v[14:15]
	;; [unrolled: 1-line block ×4, first 2 shown]
	s_cbranch_scc0 .LBB116_5
.LBB116_3:                              ; =>This Inner Loop Header: Depth=1
	v_mov_b32_e32 v9, 0
	v_mov_b32_e32 v10, 0x405ec000
	s_wait_loadcnt 0x3
	ds_store_b64 v11, v[7:8] offset:2048
	s_wait_loadcnt_dscnt 0x0
	s_barrier_signal -1
	s_barrier_wait -1
	global_inv scope:SCOPE_SE
	s_and_saveexec_b32 s1, vcc_lo
	s_cbranch_execz .LBB116_2
; %bb.4:                                ;   in Loop: Header=BB116_3 Depth=1
	ds_load_b64 v[9:10], v11 offset:2056
	s_branch .LBB116_2
.LBB116_5:
	s_add_nc_u64 s[0:1], s[6:7], s[2:3]
	s_wait_loadcnt 0x3
	global_store_b64 v11, v[7:8], s[0:1]
	s_wait_loadcnt 0x2
	global_store_b64 v11, v[5:6], s[0:1] offset:2048
	s_wait_loadcnt 0x1
	global_store_b64 v11, v[3:4], s[0:1] offset:4096
	;; [unrolled: 2-line block ×3, first 2 shown]
	s_endpgm
	.section	.rodata,"a",@progbits
	.p2align	6, 0x0
	.amdhsa_kernel _Z6kernelI14subtract_rightLj256ELj4ELb1EJPdS1_jEEvDpT3_
		.amdhsa_group_segment_fixed_size 4096
		.amdhsa_private_segment_fixed_size 0
		.amdhsa_kernarg_size 20
		.amdhsa_user_sgpr_count 2
		.amdhsa_user_sgpr_dispatch_ptr 0
		.amdhsa_user_sgpr_queue_ptr 0
		.amdhsa_user_sgpr_kernarg_segment_ptr 1
		.amdhsa_user_sgpr_dispatch_id 0
		.amdhsa_user_sgpr_private_segment_size 0
		.amdhsa_wavefront_size32 1
		.amdhsa_uses_dynamic_stack 0
		.amdhsa_enable_private_segment 0
		.amdhsa_system_sgpr_workgroup_id_x 1
		.amdhsa_system_sgpr_workgroup_id_y 0
		.amdhsa_system_sgpr_workgroup_id_z 0
		.amdhsa_system_sgpr_workgroup_info 0
		.amdhsa_system_vgpr_workitem_id 0
		.amdhsa_next_free_vgpr 18
		.amdhsa_next_free_sgpr 8
		.amdhsa_reserve_vcc 1
		.amdhsa_float_round_mode_32 0
		.amdhsa_float_round_mode_16_64 0
		.amdhsa_float_denorm_mode_32 3
		.amdhsa_float_denorm_mode_16_64 3
		.amdhsa_fp16_overflow 0
		.amdhsa_workgroup_processor_mode 1
		.amdhsa_memory_ordered 1
		.amdhsa_forward_progress 1
		.amdhsa_inst_pref_size 3
		.amdhsa_round_robin_scheduling 0
		.amdhsa_exception_fp_ieee_invalid_op 0
		.amdhsa_exception_fp_denorm_src 0
		.amdhsa_exception_fp_ieee_div_zero 0
		.amdhsa_exception_fp_ieee_overflow 0
		.amdhsa_exception_fp_ieee_underflow 0
		.amdhsa_exception_fp_ieee_inexact 0
		.amdhsa_exception_int_div_zero 0
	.end_amdhsa_kernel
	.section	.text._Z6kernelI14subtract_rightLj256ELj4ELb1EJPdS1_jEEvDpT3_,"axG",@progbits,_Z6kernelI14subtract_rightLj256ELj4ELb1EJPdS1_jEEvDpT3_,comdat
.Lfunc_end116:
	.size	_Z6kernelI14subtract_rightLj256ELj4ELb1EJPdS1_jEEvDpT3_, .Lfunc_end116-_Z6kernelI14subtract_rightLj256ELj4ELb1EJPdS1_jEEvDpT3_
                                        ; -- End function
	.set _Z6kernelI14subtract_rightLj256ELj4ELb1EJPdS1_jEEvDpT3_.num_vgpr, 18
	.set _Z6kernelI14subtract_rightLj256ELj4ELb1EJPdS1_jEEvDpT3_.num_agpr, 0
	.set _Z6kernelI14subtract_rightLj256ELj4ELb1EJPdS1_jEEvDpT3_.numbered_sgpr, 8
	.set _Z6kernelI14subtract_rightLj256ELj4ELb1EJPdS1_jEEvDpT3_.num_named_barrier, 0
	.set _Z6kernelI14subtract_rightLj256ELj4ELb1EJPdS1_jEEvDpT3_.private_seg_size, 0
	.set _Z6kernelI14subtract_rightLj256ELj4ELb1EJPdS1_jEEvDpT3_.uses_vcc, 1
	.set _Z6kernelI14subtract_rightLj256ELj4ELb1EJPdS1_jEEvDpT3_.uses_flat_scratch, 0
	.set _Z6kernelI14subtract_rightLj256ELj4ELb1EJPdS1_jEEvDpT3_.has_dyn_sized_stack, 0
	.set _Z6kernelI14subtract_rightLj256ELj4ELb1EJPdS1_jEEvDpT3_.has_recursion, 0
	.set _Z6kernelI14subtract_rightLj256ELj4ELb1EJPdS1_jEEvDpT3_.has_indirect_call, 0
	.section	.AMDGPU.csdata,"",@progbits
; Kernel info:
; codeLenInByte = 344
; TotalNumSgprs: 10
; NumVgprs: 18
; ScratchSize: 0
; MemoryBound: 0
; FloatMode: 240
; IeeeMode: 1
; LDSByteSize: 4096 bytes/workgroup (compile time only)
; SGPRBlocks: 0
; VGPRBlocks: 2
; NumSGPRsForWavesPerEU: 10
; NumVGPRsForWavesPerEU: 18
; Occupancy: 16
; WaveLimiterHint : 1
; COMPUTE_PGM_RSRC2:SCRATCH_EN: 0
; COMPUTE_PGM_RSRC2:USER_SGPR: 2
; COMPUTE_PGM_RSRC2:TRAP_HANDLER: 0
; COMPUTE_PGM_RSRC2:TGID_X_EN: 1
; COMPUTE_PGM_RSRC2:TGID_Y_EN: 0
; COMPUTE_PGM_RSRC2:TGID_Z_EN: 0
; COMPUTE_PGM_RSRC2:TIDIG_COMP_CNT: 0
	.section	.text._Z6kernelI14subtract_rightLj256ELj8ELb1EJPdS1_jEEvDpT3_,"axG",@progbits,_Z6kernelI14subtract_rightLj256ELj8ELb1EJPdS1_jEEvDpT3_,comdat
	.protected	_Z6kernelI14subtract_rightLj256ELj8ELb1EJPdS1_jEEvDpT3_ ; -- Begin function _Z6kernelI14subtract_rightLj256ELj8ELb1EJPdS1_jEEvDpT3_
	.globl	_Z6kernelI14subtract_rightLj256ELj8ELb1EJPdS1_jEEvDpT3_
	.p2align	8
	.type	_Z6kernelI14subtract_rightLj256ELj8ELb1EJPdS1_jEEvDpT3_,@function
_Z6kernelI14subtract_rightLj256ELj8ELb1EJPdS1_jEEvDpT3_: ; @_Z6kernelI14subtract_rightLj256ELj8ELb1EJPdS1_jEEvDpT3_
; %bb.0:
	s_load_b128 s[4:7], s[0:1], 0x0
	s_lshl_b32 s2, ttmp9, 11
	s_mov_b32 s3, 0
	v_lshlrev_b32_e32 v19, 3, v0
	s_lshl_b64 s[2:3], s[2:3], 3
	s_load_b32 s0, s[0:1], 0x10
	s_wait_kmcnt 0x0
	s_add_nc_u64 s[4:5], s[4:5], s[2:3]
	s_clause 0x7
	global_load_b64 v[15:16], v19, s[4:5]
	global_load_b64 v[13:14], v19, s[4:5] offset:2048
	global_load_b64 v[11:12], v19, s[4:5] offset:4096
	global_load_b64 v[9:10], v19, s[4:5] offset:6144
	global_load_b64 v[7:8], v19, s[4:5] offset:8192
	global_load_b64 v[5:6], v19, s[4:5] offset:10240
	global_load_b64 v[3:4], v19, s[4:5] offset:12288
	global_load_b64 v[1:2], v19, s[4:5] offset:14336
	s_cmp_eq_u32 s0, 0
	s_cbranch_scc1 .LBB117_5
; %bb.1:
	v_cmp_ne_u32_e32 vcc_lo, 0xff, v0
	s_branch .LBB117_3
.LBB117_2:                              ;   in Loop: Header=BB117_3 Depth=1
	s_or_b32 exec_lo, exec_lo, s1
	v_add_f64_e64 v[20:21], v[15:16], -v[13:14]
	v_add_f64_e64 v[22:23], v[13:14], -v[11:12]
	;; [unrolled: 1-line block ×7, first 2 shown]
	s_wait_dscnt 0x0
	v_add_f64_e64 v[17:18], v[1:2], -v[17:18]
	s_add_co_i32 s0, s0, -1
	s_wait_loadcnt 0x0
	s_cmp_lg_u32 s0, 0
	s_barrier_signal -1
	s_barrier_wait -1
	global_inv scope:SCOPE_SE
	v_add_f64_e32 v[15:16], v[15:16], v[20:21]
	v_add_f64_e32 v[13:14], v[13:14], v[22:23]
	;; [unrolled: 1-line block ×8, first 2 shown]
	s_cbranch_scc0 .LBB117_5
.LBB117_3:                              ; =>This Inner Loop Header: Depth=1
	v_mov_b32_e32 v17, 0
	v_mov_b32_e32 v18, 0x405ec000
	s_wait_loadcnt 0x7
	ds_store_b64 v19, v[15:16] offset:2048
	s_wait_loadcnt_dscnt 0x0
	s_barrier_signal -1
	s_barrier_wait -1
	global_inv scope:SCOPE_SE
	s_and_saveexec_b32 s1, vcc_lo
	s_cbranch_execz .LBB117_2
; %bb.4:                                ;   in Loop: Header=BB117_3 Depth=1
	ds_load_b64 v[17:18], v19 offset:2056
	s_branch .LBB117_2
.LBB117_5:
	s_add_nc_u64 s[0:1], s[6:7], s[2:3]
	s_wait_loadcnt 0x7
	global_store_b64 v19, v[15:16], s[0:1]
	s_wait_loadcnt 0x6
	global_store_b64 v19, v[13:14], s[0:1] offset:2048
	s_wait_loadcnt 0x5
	global_store_b64 v19, v[11:12], s[0:1] offset:4096
	;; [unrolled: 2-line block ×7, first 2 shown]
	s_endpgm
	.section	.rodata,"a",@progbits
	.p2align	6, 0x0
	.amdhsa_kernel _Z6kernelI14subtract_rightLj256ELj8ELb1EJPdS1_jEEvDpT3_
		.amdhsa_group_segment_fixed_size 4096
		.amdhsa_private_segment_fixed_size 0
		.amdhsa_kernarg_size 20
		.amdhsa_user_sgpr_count 2
		.amdhsa_user_sgpr_dispatch_ptr 0
		.amdhsa_user_sgpr_queue_ptr 0
		.amdhsa_user_sgpr_kernarg_segment_ptr 1
		.amdhsa_user_sgpr_dispatch_id 0
		.amdhsa_user_sgpr_private_segment_size 0
		.amdhsa_wavefront_size32 1
		.amdhsa_uses_dynamic_stack 0
		.amdhsa_enable_private_segment 0
		.amdhsa_system_sgpr_workgroup_id_x 1
		.amdhsa_system_sgpr_workgroup_id_y 0
		.amdhsa_system_sgpr_workgroup_id_z 0
		.amdhsa_system_sgpr_workgroup_info 0
		.amdhsa_system_vgpr_workitem_id 0
		.amdhsa_next_free_vgpr 34
		.amdhsa_next_free_sgpr 8
		.amdhsa_reserve_vcc 1
		.amdhsa_float_round_mode_32 0
		.amdhsa_float_round_mode_16_64 0
		.amdhsa_float_denorm_mode_32 3
		.amdhsa_float_denorm_mode_16_64 3
		.amdhsa_fp16_overflow 0
		.amdhsa_workgroup_processor_mode 1
		.amdhsa_memory_ordered 1
		.amdhsa_forward_progress 1
		.amdhsa_inst_pref_size 4
		.amdhsa_round_robin_scheduling 0
		.amdhsa_exception_fp_ieee_invalid_op 0
		.amdhsa_exception_fp_denorm_src 0
		.amdhsa_exception_fp_ieee_div_zero 0
		.amdhsa_exception_fp_ieee_overflow 0
		.amdhsa_exception_fp_ieee_underflow 0
		.amdhsa_exception_fp_ieee_inexact 0
		.amdhsa_exception_int_div_zero 0
	.end_amdhsa_kernel
	.section	.text._Z6kernelI14subtract_rightLj256ELj8ELb1EJPdS1_jEEvDpT3_,"axG",@progbits,_Z6kernelI14subtract_rightLj256ELj8ELb1EJPdS1_jEEvDpT3_,comdat
.Lfunc_end117:
	.size	_Z6kernelI14subtract_rightLj256ELj8ELb1EJPdS1_jEEvDpT3_, .Lfunc_end117-_Z6kernelI14subtract_rightLj256ELj8ELb1EJPdS1_jEEvDpT3_
                                        ; -- End function
	.set _Z6kernelI14subtract_rightLj256ELj8ELb1EJPdS1_jEEvDpT3_.num_vgpr, 34
	.set _Z6kernelI14subtract_rightLj256ELj8ELb1EJPdS1_jEEvDpT3_.num_agpr, 0
	.set _Z6kernelI14subtract_rightLj256ELj8ELb1EJPdS1_jEEvDpT3_.numbered_sgpr, 8
	.set _Z6kernelI14subtract_rightLj256ELj8ELb1EJPdS1_jEEvDpT3_.num_named_barrier, 0
	.set _Z6kernelI14subtract_rightLj256ELj8ELb1EJPdS1_jEEvDpT3_.private_seg_size, 0
	.set _Z6kernelI14subtract_rightLj256ELj8ELb1EJPdS1_jEEvDpT3_.uses_vcc, 1
	.set _Z6kernelI14subtract_rightLj256ELj8ELb1EJPdS1_jEEvDpT3_.uses_flat_scratch, 0
	.set _Z6kernelI14subtract_rightLj256ELj8ELb1EJPdS1_jEEvDpT3_.has_dyn_sized_stack, 0
	.set _Z6kernelI14subtract_rightLj256ELj8ELb1EJPdS1_jEEvDpT3_.has_recursion, 0
	.set _Z6kernelI14subtract_rightLj256ELj8ELb1EJPdS1_jEEvDpT3_.has_indirect_call, 0
	.section	.AMDGPU.csdata,"",@progbits
; Kernel info:
; codeLenInByte = 504
; TotalNumSgprs: 10
; NumVgprs: 34
; ScratchSize: 0
; MemoryBound: 0
; FloatMode: 240
; IeeeMode: 1
; LDSByteSize: 4096 bytes/workgroup (compile time only)
; SGPRBlocks: 0
; VGPRBlocks: 4
; NumSGPRsForWavesPerEU: 10
; NumVGPRsForWavesPerEU: 34
; Occupancy: 16
; WaveLimiterHint : 1
; COMPUTE_PGM_RSRC2:SCRATCH_EN: 0
; COMPUTE_PGM_RSRC2:USER_SGPR: 2
; COMPUTE_PGM_RSRC2:TRAP_HANDLER: 0
; COMPUTE_PGM_RSRC2:TGID_X_EN: 1
; COMPUTE_PGM_RSRC2:TGID_Y_EN: 0
; COMPUTE_PGM_RSRC2:TGID_Z_EN: 0
; COMPUTE_PGM_RSRC2:TIDIG_COMP_CNT: 0
	.section	.text._Z6kernelI14subtract_rightLj256ELj16ELb1EJPdS1_jEEvDpT3_,"axG",@progbits,_Z6kernelI14subtract_rightLj256ELj16ELb1EJPdS1_jEEvDpT3_,comdat
	.protected	_Z6kernelI14subtract_rightLj256ELj16ELb1EJPdS1_jEEvDpT3_ ; -- Begin function _Z6kernelI14subtract_rightLj256ELj16ELb1EJPdS1_jEEvDpT3_
	.globl	_Z6kernelI14subtract_rightLj256ELj16ELb1EJPdS1_jEEvDpT3_
	.p2align	8
	.type	_Z6kernelI14subtract_rightLj256ELj16ELb1EJPdS1_jEEvDpT3_,@function
_Z6kernelI14subtract_rightLj256ELj16ELb1EJPdS1_jEEvDpT3_: ; @_Z6kernelI14subtract_rightLj256ELj16ELb1EJPdS1_jEEvDpT3_
; %bb.0:
	s_load_b128 s[4:7], s[0:1], 0x0
	s_lshl_b32 s2, ttmp9, 12
	s_mov_b32 s3, 0
	v_lshlrev_b32_e32 v35, 3, v0
	s_lshl_b64 s[2:3], s[2:3], 3
	s_load_b32 s0, s[0:1], 0x10
	s_wait_kmcnt 0x0
	s_add_nc_u64 s[4:5], s[4:5], s[2:3]
	s_clause 0xf
	global_load_b64 v[31:32], v35, s[4:5]
	global_load_b64 v[29:30], v35, s[4:5] offset:2048
	global_load_b64 v[27:28], v35, s[4:5] offset:4096
	;; [unrolled: 1-line block ×15, first 2 shown]
	s_cmp_eq_u32 s0, 0
	s_cbranch_scc1 .LBB118_5
; %bb.1:
	v_cmp_ne_u32_e32 vcc_lo, 0xff, v0
	s_branch .LBB118_3
.LBB118_2:                              ;   in Loop: Header=BB118_3 Depth=1
	s_or_b32 exec_lo, exec_lo, s1
	v_add_f64_e64 v[36:37], v[31:32], -v[29:30]
	v_add_f64_e64 v[38:39], v[29:30], -v[27:28]
	;; [unrolled: 1-line block ×15, first 2 shown]
	s_wait_dscnt 0x0
	v_add_f64_e64 v[33:34], v[1:2], -v[33:34]
	s_add_co_i32 s0, s0, -1
	s_wait_loadcnt 0x0
	s_cmp_lg_u32 s0, 0
	s_barrier_signal -1
	s_barrier_wait -1
	global_inv scope:SCOPE_SE
	v_add_f64_e32 v[31:32], v[31:32], v[36:37]
	v_add_f64_e32 v[29:30], v[29:30], v[38:39]
	;; [unrolled: 1-line block ×16, first 2 shown]
	s_cbranch_scc0 .LBB118_5
.LBB118_3:                              ; =>This Inner Loop Header: Depth=1
	v_mov_b32_e32 v33, 0
	v_mov_b32_e32 v34, 0x405ec000
	s_wait_loadcnt 0xf
	ds_store_b64 v35, v[31:32] offset:2048
	s_wait_loadcnt_dscnt 0x0
	s_barrier_signal -1
	s_barrier_wait -1
	global_inv scope:SCOPE_SE
	s_and_saveexec_b32 s1, vcc_lo
	s_cbranch_execz .LBB118_2
; %bb.4:                                ;   in Loop: Header=BB118_3 Depth=1
	ds_load_b64 v[33:34], v35 offset:2056
	s_branch .LBB118_2
.LBB118_5:
	s_add_nc_u64 s[0:1], s[6:7], s[2:3]
	s_wait_loadcnt 0xf
	global_store_b64 v35, v[31:32], s[0:1]
	s_wait_loadcnt 0xe
	global_store_b64 v35, v[29:30], s[0:1] offset:2048
	s_wait_loadcnt 0xd
	global_store_b64 v35, v[27:28], s[0:1] offset:4096
	;; [unrolled: 2-line block ×15, first 2 shown]
	s_endpgm
	.section	.rodata,"a",@progbits
	.p2align	6, 0x0
	.amdhsa_kernel _Z6kernelI14subtract_rightLj256ELj16ELb1EJPdS1_jEEvDpT3_
		.amdhsa_group_segment_fixed_size 4096
		.amdhsa_private_segment_fixed_size 0
		.amdhsa_kernarg_size 20
		.amdhsa_user_sgpr_count 2
		.amdhsa_user_sgpr_dispatch_ptr 0
		.amdhsa_user_sgpr_queue_ptr 0
		.amdhsa_user_sgpr_kernarg_segment_ptr 1
		.amdhsa_user_sgpr_dispatch_id 0
		.amdhsa_user_sgpr_private_segment_size 0
		.amdhsa_wavefront_size32 1
		.amdhsa_uses_dynamic_stack 0
		.amdhsa_enable_private_segment 0
		.amdhsa_system_sgpr_workgroup_id_x 1
		.amdhsa_system_sgpr_workgroup_id_y 0
		.amdhsa_system_sgpr_workgroup_id_z 0
		.amdhsa_system_sgpr_workgroup_info 0
		.amdhsa_system_vgpr_workitem_id 0
		.amdhsa_next_free_vgpr 66
		.amdhsa_next_free_sgpr 8
		.amdhsa_reserve_vcc 1
		.amdhsa_float_round_mode_32 0
		.amdhsa_float_round_mode_16_64 0
		.amdhsa_float_denorm_mode_32 3
		.amdhsa_float_denorm_mode_16_64 3
		.amdhsa_fp16_overflow 0
		.amdhsa_workgroup_processor_mode 1
		.amdhsa_memory_ordered 1
		.amdhsa_forward_progress 1
		.amdhsa_inst_pref_size 7
		.amdhsa_round_robin_scheduling 0
		.amdhsa_exception_fp_ieee_invalid_op 0
		.amdhsa_exception_fp_denorm_src 0
		.amdhsa_exception_fp_ieee_div_zero 0
		.amdhsa_exception_fp_ieee_overflow 0
		.amdhsa_exception_fp_ieee_underflow 0
		.amdhsa_exception_fp_ieee_inexact 0
		.amdhsa_exception_int_div_zero 0
	.end_amdhsa_kernel
	.section	.text._Z6kernelI14subtract_rightLj256ELj16ELb1EJPdS1_jEEvDpT3_,"axG",@progbits,_Z6kernelI14subtract_rightLj256ELj16ELb1EJPdS1_jEEvDpT3_,comdat
.Lfunc_end118:
	.size	_Z6kernelI14subtract_rightLj256ELj16ELb1EJPdS1_jEEvDpT3_, .Lfunc_end118-_Z6kernelI14subtract_rightLj256ELj16ELb1EJPdS1_jEEvDpT3_
                                        ; -- End function
	.set _Z6kernelI14subtract_rightLj256ELj16ELb1EJPdS1_jEEvDpT3_.num_vgpr, 66
	.set _Z6kernelI14subtract_rightLj256ELj16ELb1EJPdS1_jEEvDpT3_.num_agpr, 0
	.set _Z6kernelI14subtract_rightLj256ELj16ELb1EJPdS1_jEEvDpT3_.numbered_sgpr, 8
	.set _Z6kernelI14subtract_rightLj256ELj16ELb1EJPdS1_jEEvDpT3_.num_named_barrier, 0
	.set _Z6kernelI14subtract_rightLj256ELj16ELb1EJPdS1_jEEvDpT3_.private_seg_size, 0
	.set _Z6kernelI14subtract_rightLj256ELj16ELb1EJPdS1_jEEvDpT3_.uses_vcc, 1
	.set _Z6kernelI14subtract_rightLj256ELj16ELb1EJPdS1_jEEvDpT3_.uses_flat_scratch, 0
	.set _Z6kernelI14subtract_rightLj256ELj16ELb1EJPdS1_jEEvDpT3_.has_dyn_sized_stack, 0
	.set _Z6kernelI14subtract_rightLj256ELj16ELb1EJPdS1_jEEvDpT3_.has_recursion, 0
	.set _Z6kernelI14subtract_rightLj256ELj16ELb1EJPdS1_jEEvDpT3_.has_indirect_call, 0
	.section	.AMDGPU.csdata,"",@progbits
; Kernel info:
; codeLenInByte = 824
; TotalNumSgprs: 10
; NumVgprs: 66
; ScratchSize: 0
; MemoryBound: 0
; FloatMode: 240
; IeeeMode: 1
; LDSByteSize: 4096 bytes/workgroup (compile time only)
; SGPRBlocks: 0
; VGPRBlocks: 8
; NumSGPRsForWavesPerEU: 10
; NumVGPRsForWavesPerEU: 66
; Occupancy: 16
; WaveLimiterHint : 1
; COMPUTE_PGM_RSRC2:SCRATCH_EN: 0
; COMPUTE_PGM_RSRC2:USER_SGPR: 2
; COMPUTE_PGM_RSRC2:TRAP_HANDLER: 0
; COMPUTE_PGM_RSRC2:TGID_X_EN: 1
; COMPUTE_PGM_RSRC2:TGID_Y_EN: 0
; COMPUTE_PGM_RSRC2:TGID_Z_EN: 0
; COMPUTE_PGM_RSRC2:TIDIG_COMP_CNT: 0
	.section	.text._Z6kernelI14subtract_rightLj256ELj32ELb1EJPdS1_jEEvDpT3_,"axG",@progbits,_Z6kernelI14subtract_rightLj256ELj32ELb1EJPdS1_jEEvDpT3_,comdat
	.protected	_Z6kernelI14subtract_rightLj256ELj32ELb1EJPdS1_jEEvDpT3_ ; -- Begin function _Z6kernelI14subtract_rightLj256ELj32ELb1EJPdS1_jEEvDpT3_
	.globl	_Z6kernelI14subtract_rightLj256ELj32ELb1EJPdS1_jEEvDpT3_
	.p2align	8
	.type	_Z6kernelI14subtract_rightLj256ELj32ELb1EJPdS1_jEEvDpT3_,@function
_Z6kernelI14subtract_rightLj256ELj32ELb1EJPdS1_jEEvDpT3_: ; @_Z6kernelI14subtract_rightLj256ELj32ELb1EJPdS1_jEEvDpT3_
; %bb.0:
	s_load_b128 s[4:7], s[0:1], 0x0
	s_lshl_b32 s2, ttmp9, 13
	s_mov_b32 s3, 0
	v_lshlrev_b32_e32 v67, 3, v0
	s_lshl_b64 s[2:3], s[2:3], 3
	s_load_b32 s0, s[0:1], 0x10
	s_wait_kmcnt 0x0
	s_add_nc_u64 s[4:5], s[4:5], s[2:3]
	s_clause 0x1f
	global_load_b64 v[63:64], v67, s[4:5]
	global_load_b64 v[61:62], v67, s[4:5] offset:2048
	global_load_b64 v[59:60], v67, s[4:5] offset:4096
	;; [unrolled: 1-line block ×31, first 2 shown]
	s_cmp_eq_u32 s0, 0
	s_cbranch_scc1 .LBB119_5
; %bb.1:
	v_cmp_ne_u32_e32 vcc_lo, 0xff, v0
	s_branch .LBB119_3
.LBB119_2:                              ;   in Loop: Header=BB119_3 Depth=1
	s_or_b32 exec_lo, exec_lo, s1
	v_add_f64_e64 v[68:69], v[63:64], -v[61:62]
	v_add_f64_e64 v[70:71], v[61:62], -v[59:60]
	v_add_f64_e64 v[72:73], v[59:60], -v[57:58]
	v_add_f64_e64 v[74:75], v[57:58], -v[55:56]
	v_add_f64_e64 v[76:77], v[55:56], -v[53:54]
	v_add_f64_e64 v[78:79], v[53:54], -v[51:52]
	v_add_f64_e64 v[80:81], v[51:52], -v[49:50]
	v_add_f64_e64 v[82:83], v[49:50], -v[47:48]
	v_add_f64_e64 v[84:85], v[47:48], -v[45:46]
	v_add_f64_e64 v[86:87], v[45:46], -v[43:44]
	v_add_f64_e64 v[88:89], v[43:44], -v[41:42]
	v_add_f64_e64 v[90:91], v[41:42], -v[39:40]
	v_add_f64_e64 v[92:93], v[39:40], -v[37:38]
	s_wait_dscnt 0x0
	v_add_f64_e64 v[65:66], v[1:2], -v[65:66]
	s_add_co_i32 s0, s0, -1
	s_wait_loadcnt 0x0
	s_cmp_lg_u32 s0, 0
	s_barrier_signal -1
	s_barrier_wait -1
	global_inv scope:SCOPE_SE
	v_add_f64_e32 v[63:64], v[63:64], v[68:69]
	v_add_f64_e64 v[68:69], v[37:38], -v[35:36]
	v_add_f64_e32 v[61:62], v[61:62], v[70:71]
	v_add_f64_e64 v[70:71], v[35:36], -v[33:34]
	;; [unrolled: 2-line block ×18, first 2 shown]
	v_add_f64_e32 v[27:28], v[27:28], v[78:79]
	v_add_f64_e32 v[1:2], v[1:2], v[65:66]
	;; [unrolled: 1-line block ×14, first 2 shown]
	s_cbranch_scc0 .LBB119_5
.LBB119_3:                              ; =>This Inner Loop Header: Depth=1
	v_mov_b32_e32 v65, 0
	v_mov_b32_e32 v66, 0x405ec000
	s_wait_loadcnt 0x1f
	ds_store_b64 v67, v[63:64] offset:2048
	s_wait_loadcnt_dscnt 0x0
	s_barrier_signal -1
	s_barrier_wait -1
	global_inv scope:SCOPE_SE
	s_and_saveexec_b32 s1, vcc_lo
	s_cbranch_execz .LBB119_2
; %bb.4:                                ;   in Loop: Header=BB119_3 Depth=1
	ds_load_b64 v[65:66], v67 offset:2056
	s_branch .LBB119_2
.LBB119_5:
	s_add_nc_u64 s[0:1], s[6:7], s[2:3]
	s_wait_loadcnt 0x1f
	global_store_b64 v67, v[63:64], s[0:1]
	s_wait_loadcnt 0x1e
	global_store_b64 v67, v[61:62], s[0:1] offset:2048
	s_wait_loadcnt 0x1d
	global_store_b64 v67, v[59:60], s[0:1] offset:4096
	;; [unrolled: 2-line block ×31, first 2 shown]
	s_endpgm
	.section	.rodata,"a",@progbits
	.p2align	6, 0x0
	.amdhsa_kernel _Z6kernelI14subtract_rightLj256ELj32ELb1EJPdS1_jEEvDpT3_
		.amdhsa_group_segment_fixed_size 4096
		.amdhsa_private_segment_fixed_size 0
		.amdhsa_kernarg_size 20
		.amdhsa_user_sgpr_count 2
		.amdhsa_user_sgpr_dispatch_ptr 0
		.amdhsa_user_sgpr_queue_ptr 0
		.amdhsa_user_sgpr_kernarg_segment_ptr 1
		.amdhsa_user_sgpr_dispatch_id 0
		.amdhsa_user_sgpr_private_segment_size 0
		.amdhsa_wavefront_size32 1
		.amdhsa_uses_dynamic_stack 0
		.amdhsa_enable_private_segment 0
		.amdhsa_system_sgpr_workgroup_id_x 1
		.amdhsa_system_sgpr_workgroup_id_y 0
		.amdhsa_system_sgpr_workgroup_id_z 0
		.amdhsa_system_sgpr_workgroup_info 0
		.amdhsa_system_vgpr_workitem_id 0
		.amdhsa_next_free_vgpr 94
		.amdhsa_next_free_sgpr 8
		.amdhsa_reserve_vcc 1
		.amdhsa_float_round_mode_32 0
		.amdhsa_float_round_mode_16_64 0
		.amdhsa_float_denorm_mode_32 3
		.amdhsa_float_denorm_mode_16_64 3
		.amdhsa_fp16_overflow 0
		.amdhsa_workgroup_processor_mode 1
		.amdhsa_memory_ordered 1
		.amdhsa_forward_progress 1
		.amdhsa_inst_pref_size 12
		.amdhsa_round_robin_scheduling 0
		.amdhsa_exception_fp_ieee_invalid_op 0
		.amdhsa_exception_fp_denorm_src 0
		.amdhsa_exception_fp_ieee_div_zero 0
		.amdhsa_exception_fp_ieee_overflow 0
		.amdhsa_exception_fp_ieee_underflow 0
		.amdhsa_exception_fp_ieee_inexact 0
		.amdhsa_exception_int_div_zero 0
	.end_amdhsa_kernel
	.section	.text._Z6kernelI14subtract_rightLj256ELj32ELb1EJPdS1_jEEvDpT3_,"axG",@progbits,_Z6kernelI14subtract_rightLj256ELj32ELb1EJPdS1_jEEvDpT3_,comdat
.Lfunc_end119:
	.size	_Z6kernelI14subtract_rightLj256ELj32ELb1EJPdS1_jEEvDpT3_, .Lfunc_end119-_Z6kernelI14subtract_rightLj256ELj32ELb1EJPdS1_jEEvDpT3_
                                        ; -- End function
	.set _Z6kernelI14subtract_rightLj256ELj32ELb1EJPdS1_jEEvDpT3_.num_vgpr, 94
	.set _Z6kernelI14subtract_rightLj256ELj32ELb1EJPdS1_jEEvDpT3_.num_agpr, 0
	.set _Z6kernelI14subtract_rightLj256ELj32ELb1EJPdS1_jEEvDpT3_.numbered_sgpr, 8
	.set _Z6kernelI14subtract_rightLj256ELj32ELb1EJPdS1_jEEvDpT3_.num_named_barrier, 0
	.set _Z6kernelI14subtract_rightLj256ELj32ELb1EJPdS1_jEEvDpT3_.private_seg_size, 0
	.set _Z6kernelI14subtract_rightLj256ELj32ELb1EJPdS1_jEEvDpT3_.uses_vcc, 1
	.set _Z6kernelI14subtract_rightLj256ELj32ELb1EJPdS1_jEEvDpT3_.uses_flat_scratch, 0
	.set _Z6kernelI14subtract_rightLj256ELj32ELb1EJPdS1_jEEvDpT3_.has_dyn_sized_stack, 0
	.set _Z6kernelI14subtract_rightLj256ELj32ELb1EJPdS1_jEEvDpT3_.has_recursion, 0
	.set _Z6kernelI14subtract_rightLj256ELj32ELb1EJPdS1_jEEvDpT3_.has_indirect_call, 0
	.section	.AMDGPU.csdata,"",@progbits
; Kernel info:
; codeLenInByte = 1464
; TotalNumSgprs: 10
; NumVgprs: 94
; ScratchSize: 0
; MemoryBound: 0
; FloatMode: 240
; IeeeMode: 1
; LDSByteSize: 4096 bytes/workgroup (compile time only)
; SGPRBlocks: 0
; VGPRBlocks: 11
; NumSGPRsForWavesPerEU: 10
; NumVGPRsForWavesPerEU: 94
; Occupancy: 16
; WaveLimiterHint : 1
; COMPUTE_PGM_RSRC2:SCRATCH_EN: 0
; COMPUTE_PGM_RSRC2:USER_SGPR: 2
; COMPUTE_PGM_RSRC2:TRAP_HANDLER: 0
; COMPUTE_PGM_RSRC2:TGID_X_EN: 1
; COMPUTE_PGM_RSRC2:TGID_Y_EN: 0
; COMPUTE_PGM_RSRC2:TGID_Z_EN: 0
; COMPUTE_PGM_RSRC2:TIDIG_COMP_CNT: 0
	.section	.text._Z6kernelI26subtract_left_partial_tileLj256ELj1ELb0EJPiS1_S1_jEEvDpT3_,"axG",@progbits,_Z6kernelI26subtract_left_partial_tileLj256ELj1ELb0EJPiS1_S1_jEEvDpT3_,comdat
	.protected	_Z6kernelI26subtract_left_partial_tileLj256ELj1ELb0EJPiS1_S1_jEEvDpT3_ ; -- Begin function _Z6kernelI26subtract_left_partial_tileLj256ELj1ELb0EJPiS1_S1_jEEvDpT3_
	.globl	_Z6kernelI26subtract_left_partial_tileLj256ELj1ELb0EJPiS1_S1_jEEvDpT3_
	.p2align	8
	.type	_Z6kernelI26subtract_left_partial_tileLj256ELj1ELb0EJPiS1_S1_jEEvDpT3_,@function
_Z6kernelI26subtract_left_partial_tileLj256ELj1ELb0EJPiS1_S1_jEEvDpT3_: ; @_Z6kernelI26subtract_left_partial_tileLj256ELj1ELb0EJPiS1_S1_jEEvDpT3_
; %bb.0:
	s_load_b128 s[8:11], s[0:1], 0x0
	s_lshl_b32 s6, ttmp9, 8
	s_mov_b32 s7, 0
	v_lshlrev_b32_e32 v2, 2, v0
	s_lshl_b64 s[4:5], s[6:7], 2
	s_load_b96 s[0:2], s[0:1], 0x10
	v_cmp_ne_u32_e32 vcc_lo, 0, v0
	s_wait_kmcnt 0x0
	s_add_nc_u64 s[8:9], s[8:9], s[4:5]
	global_load_b32 v1, v2, s[8:9]
	s_cvt_f32_u32 s3, s2
	s_sub_co_i32 s6, 0, s2
	s_delay_alu instid0(SALU_CYCLE_2) | instskip(NEXT) | instid1(TRANS32_DEP_1)
	v_rcp_iflag_f32_e32 v3, s3
	v_readfirstlane_b32 s3, v3
	v_add_nc_u32_e32 v3, -4, v2
	s_mul_f32 s3, s3, 0x4f7ffffe
	s_wait_alu 0xfffe
	s_delay_alu instid0(SALU_CYCLE_2) | instskip(SKIP_1) | instid1(SALU_CYCLE_2)
	s_cvt_u32_f32 s3, s3
	s_wait_alu 0xfffe
	s_mul_i32 s8, s6, s3
	s_mov_b32 s6, ttmp9
	s_mul_hi_u32 s8, s3, s8
	s_lshl_b64 s[6:7], s[6:7], 2
	s_add_co_i32 s8, s3, s8
	s_add_nc_u64 s[6:7], s[10:11], s[6:7]
	s_load_b32 s3, s[6:7], 0x0
	s_lshr_b32 s7, s8, 24
	s_delay_alu instid0(SALU_CYCLE_1)
	s_mul_i32 s6, s7, s2
	s_add_co_i32 s9, s7, 1
	s_sub_co_i32 s8, 0x100, s6
	s_mov_b32 s6, s0
	s_sub_co_i32 s10, s8, s2
	s_cmp_ge_u32 s8, s2
	s_cselect_b32 s0, s9, s7
	s_cselect_b32 s7, s10, s8
	s_add_co_i32 s8, s0, 1
	s_cmp_ge_u32 s7, s2
	s_mov_b32 s7, s1
	s_cselect_b32 s0, s8, s0
	s_delay_alu instid0(SALU_CYCLE_1)
	s_add_co_i32 s1, s0, 1
	s_branch .LBB120_2
.LBB120_1:                              ;   in Loop: Header=BB120_2 Depth=1
	s_or_b32 exec_lo, exec_lo, s0
	s_add_co_i32 s0, s1, s3
	s_delay_alu instid0(VALU_DEP_1)
	v_add_nc_u32_e32 v1, v4, v1
	s_add_co_i32 s2, s2, -1
	s_and_b32 s3, s0, 0xff
	s_wait_alu 0xfffe
	s_cmp_lg_u32 s2, 0
	s_wait_loadcnt 0x0
	s_barrier_signal -1
	s_barrier_wait -1
	global_inv scope:SCOPE_SE
	s_cbranch_scc0 .LBB120_4
.LBB120_2:                              ; =>This Inner Loop Header: Depth=1
	s_wait_kmcnt 0x0
	v_cmp_gt_u32_e64 s0, s3, v0
	s_wait_loadcnt 0x0
	v_mov_b32_e32 v4, v1
	ds_store_b32 v2, v1
	s_wait_dscnt 0x0
	s_barrier_signal -1
	s_and_b32 s8, vcc_lo, s0
	s_barrier_wait -1
	global_inv scope:SCOPE_SE
	s_and_saveexec_b32 s0, s8
	s_cbranch_execz .LBB120_1
; %bb.3:                                ;   in Loop: Header=BB120_2 Depth=1
	ds_load_b32 v4, v3
	s_wait_dscnt 0x0
	v_sub_nc_u32_e32 v4, v1, v4
	s_branch .LBB120_1
.LBB120_4:
	v_lshlrev_b32_e32 v0, 2, v0
	s_add_nc_u64 s[0:1], s[6:7], s[4:5]
	global_store_b32 v0, v1, s[0:1]
	s_endpgm
	.section	.rodata,"a",@progbits
	.p2align	6, 0x0
	.amdhsa_kernel _Z6kernelI26subtract_left_partial_tileLj256ELj1ELb0EJPiS1_S1_jEEvDpT3_
		.amdhsa_group_segment_fixed_size 2048
		.amdhsa_private_segment_fixed_size 0
		.amdhsa_kernarg_size 28
		.amdhsa_user_sgpr_count 2
		.amdhsa_user_sgpr_dispatch_ptr 0
		.amdhsa_user_sgpr_queue_ptr 0
		.amdhsa_user_sgpr_kernarg_segment_ptr 1
		.amdhsa_user_sgpr_dispatch_id 0
		.amdhsa_user_sgpr_private_segment_size 0
		.amdhsa_wavefront_size32 1
		.amdhsa_uses_dynamic_stack 0
		.amdhsa_enable_private_segment 0
		.amdhsa_system_sgpr_workgroup_id_x 1
		.amdhsa_system_sgpr_workgroup_id_y 0
		.amdhsa_system_sgpr_workgroup_id_z 0
		.amdhsa_system_sgpr_workgroup_info 0
		.amdhsa_system_vgpr_workitem_id 0
		.amdhsa_next_free_vgpr 5
		.amdhsa_next_free_sgpr 12
		.amdhsa_reserve_vcc 1
		.amdhsa_float_round_mode_32 0
		.amdhsa_float_round_mode_16_64 0
		.amdhsa_float_denorm_mode_32 3
		.amdhsa_float_denorm_mode_16_64 3
		.amdhsa_fp16_overflow 0
		.amdhsa_workgroup_processor_mode 1
		.amdhsa_memory_ordered 1
		.amdhsa_forward_progress 1
		.amdhsa_inst_pref_size 3
		.amdhsa_round_robin_scheduling 0
		.amdhsa_exception_fp_ieee_invalid_op 0
		.amdhsa_exception_fp_denorm_src 0
		.amdhsa_exception_fp_ieee_div_zero 0
		.amdhsa_exception_fp_ieee_overflow 0
		.amdhsa_exception_fp_ieee_underflow 0
		.amdhsa_exception_fp_ieee_inexact 0
		.amdhsa_exception_int_div_zero 0
	.end_amdhsa_kernel
	.section	.text._Z6kernelI26subtract_left_partial_tileLj256ELj1ELb0EJPiS1_S1_jEEvDpT3_,"axG",@progbits,_Z6kernelI26subtract_left_partial_tileLj256ELj1ELb0EJPiS1_S1_jEEvDpT3_,comdat
.Lfunc_end120:
	.size	_Z6kernelI26subtract_left_partial_tileLj256ELj1ELb0EJPiS1_S1_jEEvDpT3_, .Lfunc_end120-_Z6kernelI26subtract_left_partial_tileLj256ELj1ELb0EJPiS1_S1_jEEvDpT3_
                                        ; -- End function
	.set _Z6kernelI26subtract_left_partial_tileLj256ELj1ELb0EJPiS1_S1_jEEvDpT3_.num_vgpr, 5
	.set _Z6kernelI26subtract_left_partial_tileLj256ELj1ELb0EJPiS1_S1_jEEvDpT3_.num_agpr, 0
	.set _Z6kernelI26subtract_left_partial_tileLj256ELj1ELb0EJPiS1_S1_jEEvDpT3_.numbered_sgpr, 12
	.set _Z6kernelI26subtract_left_partial_tileLj256ELj1ELb0EJPiS1_S1_jEEvDpT3_.num_named_barrier, 0
	.set _Z6kernelI26subtract_left_partial_tileLj256ELj1ELb0EJPiS1_S1_jEEvDpT3_.private_seg_size, 0
	.set _Z6kernelI26subtract_left_partial_tileLj256ELj1ELb0EJPiS1_S1_jEEvDpT3_.uses_vcc, 1
	.set _Z6kernelI26subtract_left_partial_tileLj256ELj1ELb0EJPiS1_S1_jEEvDpT3_.uses_flat_scratch, 0
	.set _Z6kernelI26subtract_left_partial_tileLj256ELj1ELb0EJPiS1_S1_jEEvDpT3_.has_dyn_sized_stack, 0
	.set _Z6kernelI26subtract_left_partial_tileLj256ELj1ELb0EJPiS1_S1_jEEvDpT3_.has_recursion, 0
	.set _Z6kernelI26subtract_left_partial_tileLj256ELj1ELb0EJPiS1_S1_jEEvDpT3_.has_indirect_call, 0
	.section	.AMDGPU.csdata,"",@progbits
; Kernel info:
; codeLenInByte = 380
; TotalNumSgprs: 14
; NumVgprs: 5
; ScratchSize: 0
; MemoryBound: 0
; FloatMode: 240
; IeeeMode: 1
; LDSByteSize: 2048 bytes/workgroup (compile time only)
; SGPRBlocks: 0
; VGPRBlocks: 0
; NumSGPRsForWavesPerEU: 14
; NumVGPRsForWavesPerEU: 5
; Occupancy: 16
; WaveLimiterHint : 0
; COMPUTE_PGM_RSRC2:SCRATCH_EN: 0
; COMPUTE_PGM_RSRC2:USER_SGPR: 2
; COMPUTE_PGM_RSRC2:TRAP_HANDLER: 0
; COMPUTE_PGM_RSRC2:TGID_X_EN: 1
; COMPUTE_PGM_RSRC2:TGID_Y_EN: 0
; COMPUTE_PGM_RSRC2:TGID_Z_EN: 0
; COMPUTE_PGM_RSRC2:TIDIG_COMP_CNT: 0
	.section	.text._Z6kernelI26subtract_left_partial_tileLj256ELj3ELb0EJPiS1_S1_jEEvDpT3_,"axG",@progbits,_Z6kernelI26subtract_left_partial_tileLj256ELj3ELb0EJPiS1_S1_jEEvDpT3_,comdat
	.protected	_Z6kernelI26subtract_left_partial_tileLj256ELj3ELb0EJPiS1_S1_jEEvDpT3_ ; -- Begin function _Z6kernelI26subtract_left_partial_tileLj256ELj3ELb0EJPiS1_S1_jEEvDpT3_
	.globl	_Z6kernelI26subtract_left_partial_tileLj256ELj3ELb0EJPiS1_S1_jEEvDpT3_
	.p2align	8
	.type	_Z6kernelI26subtract_left_partial_tileLj256ELj3ELb0EJPiS1_S1_jEEvDpT3_,@function
_Z6kernelI26subtract_left_partial_tileLj256ELj3ELb0EJPiS1_S1_jEEvDpT3_: ; @_Z6kernelI26subtract_left_partial_tileLj256ELj3ELb0EJPiS1_S1_jEEvDpT3_
; %bb.0:
	s_load_b128 s[8:11], s[0:1], 0x0
	s_mul_i32 s6, ttmp9, 0x300
	s_mov_b32 s7, 0
	v_lshlrev_b32_e32 v4, 2, v0
	s_lshl_b64 s[4:5], s[6:7], 2
	s_load_b96 s[0:2], s[0:1], 0x10
	v_mad_u32_u24 v6, v0, 3, 2
	v_mad_u32_u24 v7, v0, 3, 1
	v_add_nc_u32_e32 v8, -4, v4
	v_cmp_ne_u32_e32 vcc_lo, 0, v0
	s_wait_kmcnt 0x0
	s_add_nc_u64 s[8:9], s[8:9], s[4:5]
	s_clause 0x2
	global_load_b32 v1, v4, s[8:9]
	global_load_b32 v2, v4, s[8:9] offset:1024
	global_load_b32 v3, v4, s[8:9] offset:2048
	s_cvt_f32_u32 s3, s2
	s_sub_co_i32 s6, 0, s2
	s_delay_alu instid0(SALU_CYCLE_2) | instskip(NEXT) | instid1(TRANS32_DEP_1)
	v_rcp_iflag_f32_e32 v5, s3
	v_readfirstlane_b32 s3, v5
	v_mul_u32_u24_e32 v5, 3, v0
	s_mul_f32 s3, s3, 0x4f7ffffe
	s_wait_alu 0xfffe
	s_delay_alu instid0(SALU_CYCLE_2) | instskip(SKIP_1) | instid1(SALU_CYCLE_2)
	s_cvt_u32_f32 s3, s3
	s_wait_alu 0xfffe
	s_mul_i32 s6, s6, s3
	s_delay_alu instid0(SALU_CYCLE_1)
	s_mul_hi_u32 s8, s3, s6
	s_mov_b32 s6, ttmp9
	s_add_co_i32 s3, s3, s8
	s_lshl_b64 s[6:7], s[6:7], 2
	s_wait_alu 0xfffe
	s_mul_hi_u32 s8, s3, 0x300
	s_add_nc_u64 s[6:7], s[10:11], s[6:7]
	s_add_co_i32 s9, s8, 1
	s_load_b32 s3, s[6:7], 0x0
	s_mul_i32 s6, s8, s2
	s_delay_alu instid0(SALU_CYCLE_1)
	s_sub_co_i32 s7, 0x300, s6
	s_mov_b32 s6, s0
	s_sub_co_i32 s10, s7, s2
	s_cmp_ge_u32 s7, s2
	s_cselect_b32 s0, s9, s8
	s_cselect_b32 s7, s10, s7
	s_add_co_i32 s8, s0, 1
	s_cmp_ge_u32 s7, s2
	s_mov_b32 s7, s1
	s_cselect_b32 s0, s8, s0
	s_delay_alu instid0(SALU_CYCLE_1)
	s_add_co_i32 s1, s0, 1
	s_branch .LBB121_2
.LBB121_1:                              ;   in Loop: Header=BB121_2 Depth=1
	s_wait_alu 0xfffe
	s_or_b32 exec_lo, exec_lo, s0
	s_add_co_i32 s0, s1, s3
	v_add_nc_u32_e32 v1, v11, v1
	s_wait_alu 0xfffe
	s_mul_hi_u32 s3, s0, 0xaaaaaaab
	v_add_nc_u32_e32 v2, v10, v2
	s_wait_alu 0xfffe
	s_lshr_b32 s3, s3, 9
	v_add_nc_u32_e32 v3, v9, v3
	s_wait_alu 0xfffe
	s_mulk_i32 s3, 0x300
	s_add_co_i32 s2, s2, -1
	s_wait_alu 0xfffe
	s_sub_co_i32 s3, s0, s3
	s_cmp_lg_u32 s2, 0
	s_wait_loadcnt 0x0
	s_barrier_signal -1
	s_barrier_wait -1
	global_inv scope:SCOPE_SE
	s_cbranch_scc0 .LBB121_4
.LBB121_2:                              ; =>This Inner Loop Header: Depth=1
	s_wait_loadcnt 0x0
	v_sub_nc_u32_e32 v9, v3, v2
	s_wait_kmcnt 0x0
	s_wait_alu 0xfffe
	v_cmp_gt_u32_e64 s0, s3, v6
	v_sub_nc_u32_e32 v10, v2, v1
	v_mov_b32_e32 v11, v1
	ds_store_b32 v4, v3
	s_wait_dscnt 0x0
	s_wait_alu 0xf1ff
	v_cndmask_b32_e64 v9, v3, v9, s0
	v_cmp_gt_u32_e64 s0, s3, v7
	s_barrier_signal -1
	s_barrier_wait -1
	global_inv scope:SCOPE_SE
	s_wait_alu 0xf1ff
	v_cndmask_b32_e64 v10, v2, v10, s0
	v_cmp_gt_u32_e64 s0, s3, v5
	s_and_b32 s8, vcc_lo, s0
	s_delay_alu instid0(SALU_CYCLE_1)
	s_and_saveexec_b32 s0, s8
	s_cbranch_execz .LBB121_1
; %bb.3:                                ;   in Loop: Header=BB121_2 Depth=1
	ds_load_b32 v11, v8
	s_wait_dscnt 0x0
	v_sub_nc_u32_e32 v11, v1, v11
	s_branch .LBB121_1
.LBB121_4:
	v_lshlrev_b32_e32 v0, 2, v0
	s_add_nc_u64 s[0:1], s[6:7], s[4:5]
	s_clause 0x2
	global_store_b32 v0, v1, s[0:1]
	global_store_b32 v0, v2, s[0:1] offset:1024
	global_store_b32 v0, v3, s[0:1] offset:2048
	s_endpgm
	.section	.rodata,"a",@progbits
	.p2align	6, 0x0
	.amdhsa_kernel _Z6kernelI26subtract_left_partial_tileLj256ELj3ELb0EJPiS1_S1_jEEvDpT3_
		.amdhsa_group_segment_fixed_size 2048
		.amdhsa_private_segment_fixed_size 0
		.amdhsa_kernarg_size 28
		.amdhsa_user_sgpr_count 2
		.amdhsa_user_sgpr_dispatch_ptr 0
		.amdhsa_user_sgpr_queue_ptr 0
		.amdhsa_user_sgpr_kernarg_segment_ptr 1
		.amdhsa_user_sgpr_dispatch_id 0
		.amdhsa_user_sgpr_private_segment_size 0
		.amdhsa_wavefront_size32 1
		.amdhsa_uses_dynamic_stack 0
		.amdhsa_enable_private_segment 0
		.amdhsa_system_sgpr_workgroup_id_x 1
		.amdhsa_system_sgpr_workgroup_id_y 0
		.amdhsa_system_sgpr_workgroup_id_z 0
		.amdhsa_system_sgpr_workgroup_info 0
		.amdhsa_system_vgpr_workitem_id 0
		.amdhsa_next_free_vgpr 12
		.amdhsa_next_free_sgpr 12
		.amdhsa_reserve_vcc 1
		.amdhsa_float_round_mode_32 0
		.amdhsa_float_round_mode_16_64 0
		.amdhsa_float_denorm_mode_32 3
		.amdhsa_float_denorm_mode_16_64 3
		.amdhsa_fp16_overflow 0
		.amdhsa_workgroup_processor_mode 1
		.amdhsa_memory_ordered 1
		.amdhsa_forward_progress 1
		.amdhsa_inst_pref_size 5
		.amdhsa_round_robin_scheduling 0
		.amdhsa_exception_fp_ieee_invalid_op 0
		.amdhsa_exception_fp_denorm_src 0
		.amdhsa_exception_fp_ieee_div_zero 0
		.amdhsa_exception_fp_ieee_overflow 0
		.amdhsa_exception_fp_ieee_underflow 0
		.amdhsa_exception_fp_ieee_inexact 0
		.amdhsa_exception_int_div_zero 0
	.end_amdhsa_kernel
	.section	.text._Z6kernelI26subtract_left_partial_tileLj256ELj3ELb0EJPiS1_S1_jEEvDpT3_,"axG",@progbits,_Z6kernelI26subtract_left_partial_tileLj256ELj3ELb0EJPiS1_S1_jEEvDpT3_,comdat
.Lfunc_end121:
	.size	_Z6kernelI26subtract_left_partial_tileLj256ELj3ELb0EJPiS1_S1_jEEvDpT3_, .Lfunc_end121-_Z6kernelI26subtract_left_partial_tileLj256ELj3ELb0EJPiS1_S1_jEEvDpT3_
                                        ; -- End function
	.set _Z6kernelI26subtract_left_partial_tileLj256ELj3ELb0EJPiS1_S1_jEEvDpT3_.num_vgpr, 12
	.set _Z6kernelI26subtract_left_partial_tileLj256ELj3ELb0EJPiS1_S1_jEEvDpT3_.num_agpr, 0
	.set _Z6kernelI26subtract_left_partial_tileLj256ELj3ELb0EJPiS1_S1_jEEvDpT3_.numbered_sgpr, 12
	.set _Z6kernelI26subtract_left_partial_tileLj256ELj3ELb0EJPiS1_S1_jEEvDpT3_.num_named_barrier, 0
	.set _Z6kernelI26subtract_left_partial_tileLj256ELj3ELb0EJPiS1_S1_jEEvDpT3_.private_seg_size, 0
	.set _Z6kernelI26subtract_left_partial_tileLj256ELj3ELb0EJPiS1_S1_jEEvDpT3_.uses_vcc, 1
	.set _Z6kernelI26subtract_left_partial_tileLj256ELj3ELb0EJPiS1_S1_jEEvDpT3_.uses_flat_scratch, 0
	.set _Z6kernelI26subtract_left_partial_tileLj256ELj3ELb0EJPiS1_S1_jEEvDpT3_.has_dyn_sized_stack, 0
	.set _Z6kernelI26subtract_left_partial_tileLj256ELj3ELb0EJPiS1_S1_jEEvDpT3_.has_recursion, 0
	.set _Z6kernelI26subtract_left_partial_tileLj256ELj3ELb0EJPiS1_S1_jEEvDpT3_.has_indirect_call, 0
	.section	.AMDGPU.csdata,"",@progbits
; Kernel info:
; codeLenInByte = 560
; TotalNumSgprs: 14
; NumVgprs: 12
; ScratchSize: 0
; MemoryBound: 0
; FloatMode: 240
; IeeeMode: 1
; LDSByteSize: 2048 bytes/workgroup (compile time only)
; SGPRBlocks: 0
; VGPRBlocks: 1
; NumSGPRsForWavesPerEU: 14
; NumVGPRsForWavesPerEU: 12
; Occupancy: 16
; WaveLimiterHint : 1
; COMPUTE_PGM_RSRC2:SCRATCH_EN: 0
; COMPUTE_PGM_RSRC2:USER_SGPR: 2
; COMPUTE_PGM_RSRC2:TRAP_HANDLER: 0
; COMPUTE_PGM_RSRC2:TGID_X_EN: 1
; COMPUTE_PGM_RSRC2:TGID_Y_EN: 0
; COMPUTE_PGM_RSRC2:TGID_Z_EN: 0
; COMPUTE_PGM_RSRC2:TIDIG_COMP_CNT: 0
	.section	.text._Z6kernelI26subtract_left_partial_tileLj256ELj4ELb0EJPiS1_S1_jEEvDpT3_,"axG",@progbits,_Z6kernelI26subtract_left_partial_tileLj256ELj4ELb0EJPiS1_S1_jEEvDpT3_,comdat
	.protected	_Z6kernelI26subtract_left_partial_tileLj256ELj4ELb0EJPiS1_S1_jEEvDpT3_ ; -- Begin function _Z6kernelI26subtract_left_partial_tileLj256ELj4ELb0EJPiS1_S1_jEEvDpT3_
	.globl	_Z6kernelI26subtract_left_partial_tileLj256ELj4ELb0EJPiS1_S1_jEEvDpT3_
	.p2align	8
	.type	_Z6kernelI26subtract_left_partial_tileLj256ELj4ELb0EJPiS1_S1_jEEvDpT3_,@function
_Z6kernelI26subtract_left_partial_tileLj256ELj4ELb0EJPiS1_S1_jEEvDpT3_: ; @_Z6kernelI26subtract_left_partial_tileLj256ELj4ELb0EJPiS1_S1_jEEvDpT3_
; %bb.0:
	s_load_b128 s[8:11], s[0:1], 0x0
	s_lshl_b32 s6, ttmp9, 10
	s_mov_b32 s7, 0
	v_lshlrev_b32_e32 v5, 2, v0
	s_lshl_b64 s[4:5], s[6:7], 2
	s_load_b96 s[0:2], s[0:1], 0x10
	v_cmp_ne_u32_e32 vcc_lo, 0, v0
	s_delay_alu instid0(VALU_DEP_2)
	v_or_b32_e32 v7, 2, v5
	v_or_b32_e32 v8, 1, v5
	v_add_nc_u32_e32 v9, -4, v5
	s_wait_kmcnt 0x0
	s_add_nc_u64 s[8:9], s[8:9], s[4:5]
	s_clause 0x3
	global_load_b32 v1, v5, s[8:9]
	global_load_b32 v2, v5, s[8:9] offset:1024
	global_load_b32 v3, v5, s[8:9] offset:2048
	;; [unrolled: 1-line block ×3, first 2 shown]
	s_cvt_f32_u32 s3, s2
	s_sub_co_i32 s6, 0, s2
	s_delay_alu instid0(SALU_CYCLE_2) | instskip(NEXT) | instid1(TRANS32_DEP_1)
	v_rcp_iflag_f32_e32 v6, s3
	v_readfirstlane_b32 s3, v6
	v_or_b32_e32 v6, 3, v5
	s_mul_f32 s3, s3, 0x4f7ffffe
	s_wait_alu 0xfffe
	s_delay_alu instid0(SALU_CYCLE_2) | instskip(SKIP_1) | instid1(SALU_CYCLE_2)
	s_cvt_u32_f32 s3, s3
	s_wait_alu 0xfffe
	s_mul_i32 s6, s6, s3
	s_delay_alu instid0(SALU_CYCLE_1)
	s_mul_hi_u32 s8, s3, s6
	s_mov_b32 s6, ttmp9
	s_add_co_i32 s3, s3, s8
	s_lshl_b64 s[6:7], s[6:7], 2
	s_wait_alu 0xfffe
	s_lshr_b32 s8, s3, 22
	s_add_nc_u64 s[6:7], s[10:11], s[6:7]
	s_add_co_i32 s9, s8, 1
	s_load_b32 s3, s[6:7], 0x0
	s_mul_i32 s6, s8, s2
	s_delay_alu instid0(SALU_CYCLE_1)
	s_sub_co_i32 s7, 0x400, s6
	s_mov_b32 s6, s0
	s_sub_co_i32 s10, s7, s2
	s_cmp_ge_u32 s7, s2
	s_cselect_b32 s0, s9, s8
	s_cselect_b32 s7, s10, s7
	s_add_co_i32 s8, s0, 1
	s_cmp_ge_u32 s7, s2
	s_mov_b32 s7, s1
	s_cselect_b32 s0, s8, s0
	s_delay_alu instid0(SALU_CYCLE_1)
	s_add_co_i32 s1, s0, 1
	s_branch .LBB122_2
.LBB122_1:                              ;   in Loop: Header=BB122_2 Depth=1
	s_wait_alu 0xfffe
	s_or_b32 exec_lo, exec_lo, s0
	s_delay_alu instid0(VALU_DEP_1)
	v_add_nc_u32_e32 v1, v13, v1
	v_add_nc_u32_e32 v2, v12, v2
	;; [unrolled: 1-line block ×3, first 2 shown]
	s_add_co_i32 s0, s1, s3
	v_add_nc_u32_e32 v4, v10, v4
	s_add_co_i32 s2, s2, -1
	s_wait_alu 0xfffe
	s_and_b32 s3, s0, 0x3ff
	s_cmp_lg_u32 s2, 0
	s_wait_loadcnt 0x0
	s_barrier_signal -1
	s_barrier_wait -1
	global_inv scope:SCOPE_SE
	s_cbranch_scc0 .LBB122_4
.LBB122_2:                              ; =>This Inner Loop Header: Depth=1
	s_wait_loadcnt 0x0
	v_sub_nc_u32_e32 v10, v4, v3
	s_wait_kmcnt 0x0
	s_wait_alu 0xfffe
	v_cmp_gt_u32_e64 s0, s3, v6
	v_sub_nc_u32_e32 v11, v3, v2
	v_sub_nc_u32_e32 v12, v2, v1
	v_mov_b32_e32 v13, v1
	ds_store_b32 v5, v4
	s_wait_alu 0xf1ff
	v_cndmask_b32_e64 v10, v4, v10, s0
	v_cmp_gt_u32_e64 s0, s3, v7
	s_wait_dscnt 0x0
	s_barrier_signal -1
	s_barrier_wait -1
	global_inv scope:SCOPE_SE
	s_wait_alu 0xf1ff
	v_cndmask_b32_e64 v11, v3, v11, s0
	v_cmp_gt_u32_e64 s0, s3, v8
	s_wait_alu 0xf1ff
	s_delay_alu instid0(VALU_DEP_1) | instskip(SKIP_2) | instid1(SALU_CYCLE_1)
	v_cndmask_b32_e64 v12, v2, v12, s0
	v_cmp_gt_u32_e64 s0, s3, v5
	s_and_b32 s8, vcc_lo, s0
	s_and_saveexec_b32 s0, s8
	s_cbranch_execz .LBB122_1
; %bb.3:                                ;   in Loop: Header=BB122_2 Depth=1
	ds_load_b32 v13, v9
	s_wait_dscnt 0x0
	v_sub_nc_u32_e32 v13, v1, v13
	s_branch .LBB122_1
.LBB122_4:
	v_lshlrev_b32_e32 v0, 2, v0
	s_add_nc_u64 s[0:1], s[6:7], s[4:5]
	s_clause 0x3
	global_store_b32 v0, v1, s[0:1]
	global_store_b32 v0, v2, s[0:1] offset:1024
	global_store_b32 v0, v3, s[0:1] offset:2048
	;; [unrolled: 1-line block ×3, first 2 shown]
	s_endpgm
	.section	.rodata,"a",@progbits
	.p2align	6, 0x0
	.amdhsa_kernel _Z6kernelI26subtract_left_partial_tileLj256ELj4ELb0EJPiS1_S1_jEEvDpT3_
		.amdhsa_group_segment_fixed_size 2048
		.amdhsa_private_segment_fixed_size 0
		.amdhsa_kernarg_size 28
		.amdhsa_user_sgpr_count 2
		.amdhsa_user_sgpr_dispatch_ptr 0
		.amdhsa_user_sgpr_queue_ptr 0
		.amdhsa_user_sgpr_kernarg_segment_ptr 1
		.amdhsa_user_sgpr_dispatch_id 0
		.amdhsa_user_sgpr_private_segment_size 0
		.amdhsa_wavefront_size32 1
		.amdhsa_uses_dynamic_stack 0
		.amdhsa_enable_private_segment 0
		.amdhsa_system_sgpr_workgroup_id_x 1
		.amdhsa_system_sgpr_workgroup_id_y 0
		.amdhsa_system_sgpr_workgroup_id_z 0
		.amdhsa_system_sgpr_workgroup_info 0
		.amdhsa_system_vgpr_workitem_id 0
		.amdhsa_next_free_vgpr 14
		.amdhsa_next_free_sgpr 12
		.amdhsa_reserve_vcc 1
		.amdhsa_float_round_mode_32 0
		.amdhsa_float_round_mode_16_64 0
		.amdhsa_float_denorm_mode_32 3
		.amdhsa_float_denorm_mode_16_64 3
		.amdhsa_fp16_overflow 0
		.amdhsa_workgroup_processor_mode 1
		.amdhsa_memory_ordered 1
		.amdhsa_forward_progress 1
		.amdhsa_inst_pref_size 5
		.amdhsa_round_robin_scheduling 0
		.amdhsa_exception_fp_ieee_invalid_op 0
		.amdhsa_exception_fp_denorm_src 0
		.amdhsa_exception_fp_ieee_div_zero 0
		.amdhsa_exception_fp_ieee_overflow 0
		.amdhsa_exception_fp_ieee_underflow 0
		.amdhsa_exception_fp_ieee_inexact 0
		.amdhsa_exception_int_div_zero 0
	.end_amdhsa_kernel
	.section	.text._Z6kernelI26subtract_left_partial_tileLj256ELj4ELb0EJPiS1_S1_jEEvDpT3_,"axG",@progbits,_Z6kernelI26subtract_left_partial_tileLj256ELj4ELb0EJPiS1_S1_jEEvDpT3_,comdat
.Lfunc_end122:
	.size	_Z6kernelI26subtract_left_partial_tileLj256ELj4ELb0EJPiS1_S1_jEEvDpT3_, .Lfunc_end122-_Z6kernelI26subtract_left_partial_tileLj256ELj4ELb0EJPiS1_S1_jEEvDpT3_
                                        ; -- End function
	.set _Z6kernelI26subtract_left_partial_tileLj256ELj4ELb0EJPiS1_S1_jEEvDpT3_.num_vgpr, 14
	.set _Z6kernelI26subtract_left_partial_tileLj256ELj4ELb0EJPiS1_S1_jEEvDpT3_.num_agpr, 0
	.set _Z6kernelI26subtract_left_partial_tileLj256ELj4ELb0EJPiS1_S1_jEEvDpT3_.numbered_sgpr, 12
	.set _Z6kernelI26subtract_left_partial_tileLj256ELj4ELb0EJPiS1_S1_jEEvDpT3_.num_named_barrier, 0
	.set _Z6kernelI26subtract_left_partial_tileLj256ELj4ELb0EJPiS1_S1_jEEvDpT3_.private_seg_size, 0
	.set _Z6kernelI26subtract_left_partial_tileLj256ELj4ELb0EJPiS1_S1_jEEvDpT3_.uses_vcc, 1
	.set _Z6kernelI26subtract_left_partial_tileLj256ELj4ELb0EJPiS1_S1_jEEvDpT3_.uses_flat_scratch, 0
	.set _Z6kernelI26subtract_left_partial_tileLj256ELj4ELb0EJPiS1_S1_jEEvDpT3_.has_dyn_sized_stack, 0
	.set _Z6kernelI26subtract_left_partial_tileLj256ELj4ELb0EJPiS1_S1_jEEvDpT3_.has_recursion, 0
	.set _Z6kernelI26subtract_left_partial_tileLj256ELj4ELb0EJPiS1_S1_jEEvDpT3_.has_indirect_call, 0
	.section	.AMDGPU.csdata,"",@progbits
; Kernel info:
; codeLenInByte = 580
; TotalNumSgprs: 14
; NumVgprs: 14
; ScratchSize: 0
; MemoryBound: 0
; FloatMode: 240
; IeeeMode: 1
; LDSByteSize: 2048 bytes/workgroup (compile time only)
; SGPRBlocks: 0
; VGPRBlocks: 1
; NumSGPRsForWavesPerEU: 14
; NumVGPRsForWavesPerEU: 14
; Occupancy: 16
; WaveLimiterHint : 1
; COMPUTE_PGM_RSRC2:SCRATCH_EN: 0
; COMPUTE_PGM_RSRC2:USER_SGPR: 2
; COMPUTE_PGM_RSRC2:TRAP_HANDLER: 0
; COMPUTE_PGM_RSRC2:TGID_X_EN: 1
; COMPUTE_PGM_RSRC2:TGID_Y_EN: 0
; COMPUTE_PGM_RSRC2:TGID_Z_EN: 0
; COMPUTE_PGM_RSRC2:TIDIG_COMP_CNT: 0
	.section	.text._Z6kernelI26subtract_left_partial_tileLj256ELj8ELb0EJPiS1_S1_jEEvDpT3_,"axG",@progbits,_Z6kernelI26subtract_left_partial_tileLj256ELj8ELb0EJPiS1_S1_jEEvDpT3_,comdat
	.protected	_Z6kernelI26subtract_left_partial_tileLj256ELj8ELb0EJPiS1_S1_jEEvDpT3_ ; -- Begin function _Z6kernelI26subtract_left_partial_tileLj256ELj8ELb0EJPiS1_S1_jEEvDpT3_
	.globl	_Z6kernelI26subtract_left_partial_tileLj256ELj8ELb0EJPiS1_S1_jEEvDpT3_
	.p2align	8
	.type	_Z6kernelI26subtract_left_partial_tileLj256ELj8ELb0EJPiS1_S1_jEEvDpT3_,@function
_Z6kernelI26subtract_left_partial_tileLj256ELj8ELb0EJPiS1_S1_jEEvDpT3_: ; @_Z6kernelI26subtract_left_partial_tileLj256ELj8ELb0EJPiS1_S1_jEEvDpT3_
; %bb.0:
	s_load_b128 s[8:11], s[0:1], 0x0
	s_lshl_b32 s12, ttmp9, 11
	s_mov_b32 s13, 0
	v_lshlrev_b32_e32 v9, 2, v0
	s_lshl_b64 s[4:5], s[12:13], 2
	s_load_b96 s[0:2], s[0:1], 0x10
	s_mov_b32 s12, ttmp9
	v_cmp_ne_u32_e32 vcc_lo, 0, v0
	v_add_nc_u32_e32 v18, -4, v9
	s_wait_kmcnt 0x0
	s_add_nc_u64 s[6:7], s[8:9], s[4:5]
	s_lshl_b64 s[8:9], s[12:13], 2
	s_clause 0x7
	global_load_b32 v1, v9, s[6:7]
	global_load_b32 v2, v9, s[6:7] offset:1024
	global_load_b32 v3, v9, s[6:7] offset:2048
	;; [unrolled: 1-line block ×7, first 2 shown]
	s_add_nc_u64 s[8:9], s[10:11], s[8:9]
	s_cvt_f32_u32 s3, s2
	s_sub_co_i32 s6, 0, s2
	s_delay_alu instid0(SALU_CYCLE_2) | instskip(NEXT) | instid1(TRANS32_DEP_1)
	v_rcp_iflag_f32_e32 v10, s3
	v_readfirstlane_b32 s3, v10
	v_lshlrev_b32_e32 v10, 3, v0
	s_mul_f32 s3, s3, 0x4f7ffffe
	s_delay_alu instid0(VALU_DEP_1)
	v_or_b32_e32 v11, 7, v10
	v_or_b32_e32 v12, 6, v10
	;; [unrolled: 1-line block ×3, first 2 shown]
	s_wait_alu 0xfffe
	s_cvt_u32_f32 s3, s3
	v_or_b32_e32 v14, 4, v10
	v_or_b32_e32 v15, 3, v10
	;; [unrolled: 1-line block ×3, first 2 shown]
	s_wait_alu 0xfffe
	s_mul_i32 s6, s6, s3
	v_or_b32_e32 v17, 1, v10
	s_mul_hi_u32 s7, s3, s6
	s_mov_b32 s6, s0
	s_add_co_i32 s3, s3, s7
	s_wait_alu 0xfffe
	s_lshr_b32 s0, s3, 21
	s_load_b32 s3, s[8:9], 0x0
	s_mul_i32 s7, s0, s2
	s_add_co_i32 s8, s0, 1
	s_sub_co_i32 s7, 0x800, s7
	s_delay_alu instid0(SALU_CYCLE_1)
	s_sub_co_i32 s9, s7, s2
	s_cmp_ge_u32 s7, s2
	s_cselect_b32 s0, s8, s0
	s_cselect_b32 s7, s9, s7
	s_add_co_i32 s8, s0, 1
	s_cmp_ge_u32 s7, s2
	s_mov_b32 s7, s1
	s_cselect_b32 s0, s8, s0
	s_delay_alu instid0(SALU_CYCLE_1)
	s_add_co_i32 s1, s0, 1
	s_branch .LBB123_2
.LBB123_1:                              ;   in Loop: Header=BB123_2 Depth=1
	s_wait_alu 0xfffe
	s_or_b32 exec_lo, exec_lo, s0
	v_cmp_gt_u32_e64 s0, s3, v11
	s_add_co_i32 s2, s2, -1
	s_wait_loadcnt 0x0
	s_barrier_signal -1
	s_barrier_wait -1
	v_cndmask_b32_e64 v20, 0, v7, s0
	v_cmp_gt_u32_e64 s0, s3, v12
	global_inv scope:SCOPE_SE
	v_sub_nc_u32_e32 v20, v8, v20
	s_wait_alu 0xf1ff
	v_cndmask_b32_e64 v21, 0, v6, s0
	v_cmp_gt_u32_e64 s0, s3, v13
	s_delay_alu instid0(VALU_DEP_3) | instskip(NEXT) | instid1(VALU_DEP_3)
	v_add_nc_u32_e32 v8, v20, v8
	v_sub_nc_u32_e32 v21, v7, v21
	s_wait_alu 0xf1ff
	s_delay_alu instid0(VALU_DEP_3) | instskip(SKIP_1) | instid1(VALU_DEP_3)
	v_cndmask_b32_e64 v22, 0, v5, s0
	v_cmp_gt_u32_e64 s0, s3, v15
	v_add_nc_u32_e32 v7, v21, v7
	s_delay_alu instid0(VALU_DEP_3) | instskip(SKIP_1) | instid1(VALU_DEP_3)
	v_sub_nc_u32_e32 v22, v6, v22
	s_wait_alu 0xf1ff
	v_cndmask_b32_e64 v23, 0, v3, s0
	v_cmp_gt_u32_e64 s0, s3, v17
	s_delay_alu instid0(VALU_DEP_3) | instskip(NEXT) | instid1(VALU_DEP_3)
	v_add_nc_u32_e32 v6, v22, v6
	v_sub_nc_u32_e32 v23, v4, v23
	s_wait_alu 0xf1ff
	s_delay_alu instid0(VALU_DEP_3) | instskip(SKIP_2) | instid1(VALU_DEP_3)
	v_cndmask_b32_e64 v24, 0, v1, s0
	v_cmp_gt_u32_e64 s0, s3, v16
	v_add_nc_u32_e32 v1, v19, v1
	v_sub_nc_u32_e32 v24, v2, v24
	s_wait_alu 0xf1ff
	s_delay_alu instid0(VALU_DEP_3) | instskip(SKIP_1) | instid1(VALU_DEP_3)
	v_cndmask_b32_e64 v25, 0, v2, s0
	v_cmp_gt_u32_e64 s0, s3, v14
	v_add_nc_u32_e32 v2, v24, v2
	s_delay_alu instid0(VALU_DEP_3) | instskip(SKIP_1) | instid1(VALU_DEP_3)
	v_sub_nc_u32_e32 v25, v3, v25
	s_wait_alu 0xf1ff
	v_cndmask_b32_e64 v26, 0, v4, s0
	v_add_nc_u32_e32 v4, v23, v4
	s_add_co_i32 s0, s1, s3
	v_add_nc_u32_e32 v3, v25, v3
	s_delay_alu instid0(VALU_DEP_3) | instskip(SKIP_3) | instid1(VALU_DEP_1)
	v_sub_nc_u32_e32 v26, v5, v26
	s_wait_alu 0xfffe
	s_and_b32 s3, s0, 0x7ff
	s_cmp_lg_u32 s2, 0
	v_add_nc_u32_e32 v5, v26, v5
	s_cbranch_scc0 .LBB123_4
.LBB123_2:                              ; =>This Inner Loop Header: Depth=1
	s_wait_kmcnt 0x0
	s_wait_alu 0xfffe
	v_cmp_gt_u32_e64 s0, s3, v10
	s_wait_loadcnt 0x7
	v_mov_b32_e32 v19, v1
	s_wait_loadcnt 0x0
	ds_store_b32 v9, v8
	s_wait_dscnt 0x0
	s_barrier_signal -1
	s_and_b32 s8, vcc_lo, s0
	s_barrier_wait -1
	global_inv scope:SCOPE_SE
	s_and_saveexec_b32 s0, s8
	s_cbranch_execz .LBB123_1
; %bb.3:                                ;   in Loop: Header=BB123_2 Depth=1
	ds_load_b32 v19, v18
	s_wait_dscnt 0x0
	v_sub_nc_u32_e32 v19, v1, v19
	s_branch .LBB123_1
.LBB123_4:
	v_lshlrev_b32_e32 v0, 2, v0
	s_add_nc_u64 s[0:1], s[6:7], s[4:5]
	s_clause 0x7
	global_store_b32 v0, v1, s[0:1]
	global_store_b32 v0, v2, s[0:1] offset:1024
	global_store_b32 v0, v3, s[0:1] offset:2048
	;; [unrolled: 1-line block ×7, first 2 shown]
	s_endpgm
	.section	.rodata,"a",@progbits
	.p2align	6, 0x0
	.amdhsa_kernel _Z6kernelI26subtract_left_partial_tileLj256ELj8ELb0EJPiS1_S1_jEEvDpT3_
		.amdhsa_group_segment_fixed_size 2048
		.amdhsa_private_segment_fixed_size 0
		.amdhsa_kernarg_size 28
		.amdhsa_user_sgpr_count 2
		.amdhsa_user_sgpr_dispatch_ptr 0
		.amdhsa_user_sgpr_queue_ptr 0
		.amdhsa_user_sgpr_kernarg_segment_ptr 1
		.amdhsa_user_sgpr_dispatch_id 0
		.amdhsa_user_sgpr_private_segment_size 0
		.amdhsa_wavefront_size32 1
		.amdhsa_uses_dynamic_stack 0
		.amdhsa_enable_private_segment 0
		.amdhsa_system_sgpr_workgroup_id_x 1
		.amdhsa_system_sgpr_workgroup_id_y 0
		.amdhsa_system_sgpr_workgroup_id_z 0
		.amdhsa_system_sgpr_workgroup_info 0
		.amdhsa_system_vgpr_workitem_id 0
		.amdhsa_next_free_vgpr 27
		.amdhsa_next_free_sgpr 14
		.amdhsa_reserve_vcc 1
		.amdhsa_float_round_mode_32 0
		.amdhsa_float_round_mode_16_64 0
		.amdhsa_float_denorm_mode_32 3
		.amdhsa_float_denorm_mode_16_64 3
		.amdhsa_fp16_overflow 0
		.amdhsa_workgroup_processor_mode 1
		.amdhsa_memory_ordered 1
		.amdhsa_forward_progress 1
		.amdhsa_inst_pref_size 7
		.amdhsa_round_robin_scheduling 0
		.amdhsa_exception_fp_ieee_invalid_op 0
		.amdhsa_exception_fp_denorm_src 0
		.amdhsa_exception_fp_ieee_div_zero 0
		.amdhsa_exception_fp_ieee_overflow 0
		.amdhsa_exception_fp_ieee_underflow 0
		.amdhsa_exception_fp_ieee_inexact 0
		.amdhsa_exception_int_div_zero 0
	.end_amdhsa_kernel
	.section	.text._Z6kernelI26subtract_left_partial_tileLj256ELj8ELb0EJPiS1_S1_jEEvDpT3_,"axG",@progbits,_Z6kernelI26subtract_left_partial_tileLj256ELj8ELb0EJPiS1_S1_jEEvDpT3_,comdat
.Lfunc_end123:
	.size	_Z6kernelI26subtract_left_partial_tileLj256ELj8ELb0EJPiS1_S1_jEEvDpT3_, .Lfunc_end123-_Z6kernelI26subtract_left_partial_tileLj256ELj8ELb0EJPiS1_S1_jEEvDpT3_
                                        ; -- End function
	.set _Z6kernelI26subtract_left_partial_tileLj256ELj8ELb0EJPiS1_S1_jEEvDpT3_.num_vgpr, 27
	.set _Z6kernelI26subtract_left_partial_tileLj256ELj8ELb0EJPiS1_S1_jEEvDpT3_.num_agpr, 0
	.set _Z6kernelI26subtract_left_partial_tileLj256ELj8ELb0EJPiS1_S1_jEEvDpT3_.numbered_sgpr, 14
	.set _Z6kernelI26subtract_left_partial_tileLj256ELj8ELb0EJPiS1_S1_jEEvDpT3_.num_named_barrier, 0
	.set _Z6kernelI26subtract_left_partial_tileLj256ELj8ELb0EJPiS1_S1_jEEvDpT3_.private_seg_size, 0
	.set _Z6kernelI26subtract_left_partial_tileLj256ELj8ELb0EJPiS1_S1_jEEvDpT3_.uses_vcc, 1
	.set _Z6kernelI26subtract_left_partial_tileLj256ELj8ELb0EJPiS1_S1_jEEvDpT3_.uses_flat_scratch, 0
	.set _Z6kernelI26subtract_left_partial_tileLj256ELj8ELb0EJPiS1_S1_jEEvDpT3_.has_dyn_sized_stack, 0
	.set _Z6kernelI26subtract_left_partial_tileLj256ELj8ELb0EJPiS1_S1_jEEvDpT3_.has_recursion, 0
	.set _Z6kernelI26subtract_left_partial_tileLj256ELj8ELb0EJPiS1_S1_jEEvDpT3_.has_indirect_call, 0
	.section	.AMDGPU.csdata,"",@progbits
; Kernel info:
; codeLenInByte = 824
; TotalNumSgprs: 16
; NumVgprs: 27
; ScratchSize: 0
; MemoryBound: 0
; FloatMode: 240
; IeeeMode: 1
; LDSByteSize: 2048 bytes/workgroup (compile time only)
; SGPRBlocks: 0
; VGPRBlocks: 3
; NumSGPRsForWavesPerEU: 16
; NumVGPRsForWavesPerEU: 27
; Occupancy: 16
; WaveLimiterHint : 1
; COMPUTE_PGM_RSRC2:SCRATCH_EN: 0
; COMPUTE_PGM_RSRC2:USER_SGPR: 2
; COMPUTE_PGM_RSRC2:TRAP_HANDLER: 0
; COMPUTE_PGM_RSRC2:TGID_X_EN: 1
; COMPUTE_PGM_RSRC2:TGID_Y_EN: 0
; COMPUTE_PGM_RSRC2:TGID_Z_EN: 0
; COMPUTE_PGM_RSRC2:TIDIG_COMP_CNT: 0
	.section	.text._Z6kernelI26subtract_left_partial_tileLj256ELj16ELb0EJPiS1_S1_jEEvDpT3_,"axG",@progbits,_Z6kernelI26subtract_left_partial_tileLj256ELj16ELb0EJPiS1_S1_jEEvDpT3_,comdat
	.protected	_Z6kernelI26subtract_left_partial_tileLj256ELj16ELb0EJPiS1_S1_jEEvDpT3_ ; -- Begin function _Z6kernelI26subtract_left_partial_tileLj256ELj16ELb0EJPiS1_S1_jEEvDpT3_
	.globl	_Z6kernelI26subtract_left_partial_tileLj256ELj16ELb0EJPiS1_S1_jEEvDpT3_
	.p2align	8
	.type	_Z6kernelI26subtract_left_partial_tileLj256ELj16ELb0EJPiS1_S1_jEEvDpT3_,@function
_Z6kernelI26subtract_left_partial_tileLj256ELj16ELb0EJPiS1_S1_jEEvDpT3_: ; @_Z6kernelI26subtract_left_partial_tileLj256ELj16ELb0EJPiS1_S1_jEEvDpT3_
; %bb.0:
	s_load_b128 s[4:7], s[0:1], 0x0
	s_lshl_b32 s10, ttmp9, 12
	s_mov_b32 s11, 0
	v_lshlrev_b32_e32 v17, 2, v0
	s_lshl_b64 s[8:9], s[10:11], 2
	s_load_b96 s[0:2], s[0:1], 0x10
	s_mov_b32 s10, ttmp9
	v_cmp_ne_u32_e32 vcc_lo, 0, v0
	s_lshl_b64 s[10:11], s[10:11], 2
	v_add_nc_u32_e32 v34, -4, v17
	s_wait_kmcnt 0x0
	s_add_nc_u64 s[4:5], s[4:5], s[8:9]
	s_add_nc_u64 s[6:7], s[6:7], s[10:11]
	s_clause 0xf
	global_load_b32 v16, v17, s[4:5]
	global_load_b32 v15, v17, s[4:5] offset:1024
	global_load_b32 v14, v17, s[4:5] offset:2048
	;; [unrolled: 1-line block ×15, first 2 shown]
	s_cvt_f32_u32 s3, s2
	s_sub_co_i32 s4, 0, s2
	s_delay_alu instid0(SALU_CYCLE_2) | instskip(NEXT) | instid1(TRANS32_DEP_1)
	v_rcp_iflag_f32_e32 v18, s3
	v_readfirstlane_b32 s3, v18
	v_lshlrev_b32_e32 v18, 4, v0
	s_mul_f32 s3, s3, 0x4f7ffffe
	s_delay_alu instid0(VALU_DEP_1)
	v_or_b32_e32 v19, 15, v18
	v_or_b32_e32 v20, 14, v18
	;; [unrolled: 1-line block ×3, first 2 shown]
	s_wait_alu 0xfffe
	s_cvt_u32_f32 s3, s3
	v_or_b32_e32 v22, 12, v18
	v_or_b32_e32 v23, 11, v18
	;; [unrolled: 1-line block ×3, first 2 shown]
	s_wait_alu 0xfffe
	s_mul_i32 s4, s4, s3
	v_or_b32_e32 v25, 9, v18
	s_mul_hi_u32 s5, s3, s4
	s_mov_b32 s4, s0
	s_add_co_i32 s3, s3, s5
	v_or_b32_e32 v26, 8, v18
	s_wait_alu 0xfffe
	s_lshr_b32 s0, s3, 20
	s_load_b32 s3, s[6:7], 0x0
	s_mul_i32 s5, s0, s2
	s_add_co_i32 s6, s0, 1
	s_sub_co_i32 s5, 0x1000, s5
	v_or_b32_e32 v27, 7, v18
	s_sub_co_i32 s7, s5, s2
	s_cmp_ge_u32 s5, s2
	v_or_b32_e32 v28, 6, v18
	s_cselect_b32 s0, s6, s0
	s_cselect_b32 s5, s7, s5
	s_add_co_i32 s6, s0, 1
	s_cmp_ge_u32 s5, s2
	v_or_b32_e32 v29, 5, v18
	v_or_b32_e32 v30, 4, v18
	;; [unrolled: 1-line block ×5, first 2 shown]
	s_cselect_b32 s0, s6, s0
	s_mov_b32 s5, s1
	s_add_co_i32 s1, s0, 1
	s_branch .LBB124_2
.LBB124_1:                              ;   in Loop: Header=BB124_2 Depth=1
	s_wait_alu 0xfffe
	s_or_b32 exec_lo, exec_lo, s0
	v_cmp_gt_u32_e64 s0, s3, v19
	s_add_co_i32 s2, s2, -1
	s_wait_loadcnt 0x0
	s_barrier_signal -1
	s_barrier_wait -1
	v_cndmask_b32_e64 v36, 0, v2, s0
	v_cmp_gt_u32_e64 s0, s3, v20
	global_inv scope:SCOPE_SE
	v_sub_nc_u32_e32 v36, v1, v36
	s_wait_alu 0xf1ff
	v_cndmask_b32_e64 v37, 0, v3, s0
	v_cmp_gt_u32_e64 s0, s3, v21
	s_delay_alu instid0(VALU_DEP_3) | instskip(NEXT) | instid1(VALU_DEP_3)
	v_add_nc_u32_e32 v1, v36, v1
	v_sub_nc_u32_e32 v37, v2, v37
	s_wait_alu 0xf1ff
	s_delay_alu instid0(VALU_DEP_3) | instskip(SKIP_1) | instid1(VALU_DEP_3)
	v_cndmask_b32_e64 v38, 0, v4, s0
	v_cmp_gt_u32_e64 s0, s3, v22
	v_add_nc_u32_e32 v2, v37, v2
	s_delay_alu instid0(VALU_DEP_3) | instskip(SKIP_1) | instid1(VALU_DEP_3)
	v_sub_nc_u32_e32 v38, v3, v38
	s_wait_alu 0xf1ff
	v_cndmask_b32_e64 v39, 0, v5, s0
	v_cmp_gt_u32_e64 s0, s3, v23
	s_delay_alu instid0(VALU_DEP_3) | instskip(NEXT) | instid1(VALU_DEP_3)
	v_add_nc_u32_e32 v3, v38, v3
	v_sub_nc_u32_e32 v39, v4, v39
	s_wait_alu 0xf1ff
	s_delay_alu instid0(VALU_DEP_3) | instskip(SKIP_1) | instid1(VALU_DEP_3)
	v_cndmask_b32_e64 v40, 0, v6, s0
	v_cmp_gt_u32_e64 s0, s3, v24
	v_add_nc_u32_e32 v4, v39, v4
	s_delay_alu instid0(VALU_DEP_3) | instskip(SKIP_1) | instid1(VALU_DEP_3)
	;; [unrolled: 13-line block ×5, first 2 shown]
	v_sub_nc_u32_e32 v46, v11, v46
	s_wait_alu 0xf1ff
	v_cndmask_b32_e64 v47, 0, v14, s0
	v_cmp_gt_u32_e64 s0, s3, v33
	s_delay_alu instid0(VALU_DEP_3) | instskip(NEXT) | instid1(VALU_DEP_3)
	v_add_nc_u32_e32 v11, v46, v11
	v_sub_nc_u32_e32 v47, v13, v47
	s_wait_alu 0xf1ff
	s_delay_alu instid0(VALU_DEP_3) | instskip(SKIP_2) | instid1(VALU_DEP_3)
	v_cndmask_b32_e64 v48, 0, v16, s0
	v_cmp_gt_u32_e64 s0, s3, v32
	v_add_nc_u32_e32 v16, v35, v16
	v_sub_nc_u32_e32 v48, v15, v48
	s_wait_alu 0xf1ff
	s_delay_alu instid0(VALU_DEP_3) | instskip(SKIP_1) | instid1(VALU_DEP_3)
	v_cndmask_b32_e64 v49, 0, v15, s0
	v_cmp_gt_u32_e64 s0, s3, v30
	v_add_nc_u32_e32 v15, v48, v15
	s_delay_alu instid0(VALU_DEP_3) | instskip(SKIP_1) | instid1(VALU_DEP_3)
	v_sub_nc_u32_e32 v49, v14, v49
	s_wait_alu 0xf1ff
	v_cndmask_b32_e64 v50, 0, v13, s0
	v_add_nc_u32_e32 v13, v47, v13
	s_add_co_i32 s0, s1, s3
	v_add_nc_u32_e32 v14, v49, v14
	s_delay_alu instid0(VALU_DEP_3) | instskip(SKIP_3) | instid1(VALU_DEP_1)
	v_sub_nc_u32_e32 v50, v12, v50
	s_wait_alu 0xfffe
	s_and_b32 s3, s0, 0xfff
	s_cmp_lg_u32 s2, 0
	v_add_nc_u32_e32 v12, v50, v12
	s_cbranch_scc0 .LBB124_4
.LBB124_2:                              ; =>This Inner Loop Header: Depth=1
	s_wait_kmcnt 0x0
	s_wait_alu 0xfffe
	v_cmp_gt_u32_e64 s0, s3, v18
	s_wait_loadcnt 0xf
	v_mov_b32_e32 v35, v16
	s_wait_loadcnt 0x0
	ds_store_b32 v17, v1
	s_wait_dscnt 0x0
	s_barrier_signal -1
	s_and_b32 s6, vcc_lo, s0
	s_barrier_wait -1
	global_inv scope:SCOPE_SE
	s_and_saveexec_b32 s0, s6
	s_cbranch_execz .LBB124_1
; %bb.3:                                ;   in Loop: Header=BB124_2 Depth=1
	ds_load_b32 v35, v34
	s_wait_dscnt 0x0
	v_sub_nc_u32_e32 v35, v16, v35
	s_branch .LBB124_1
.LBB124_4:
	v_lshlrev_b32_e32 v0, 2, v0
	s_add_nc_u64 s[0:1], s[4:5], s[8:9]
	s_clause 0xf
	global_store_b32 v0, v16, s[0:1]
	global_store_b32 v0, v15, s[0:1] offset:1024
	global_store_b32 v0, v14, s[0:1] offset:2048
	global_store_b32 v0, v13, s[0:1] offset:3072
	global_store_b32 v0, v12, s[0:1] offset:4096
	global_store_b32 v0, v11, s[0:1] offset:5120
	global_store_b32 v0, v10, s[0:1] offset:6144
	global_store_b32 v0, v9, s[0:1] offset:7168
	global_store_b32 v0, v8, s[0:1] offset:8192
	global_store_b32 v0, v7, s[0:1] offset:9216
	global_store_b32 v0, v6, s[0:1] offset:10240
	global_store_b32 v0, v5, s[0:1] offset:11264
	global_store_b32 v0, v4, s[0:1] offset:12288
	global_store_b32 v0, v3, s[0:1] offset:13312
	global_store_b32 v0, v2, s[0:1] offset:14336
	global_store_b32 v0, v1, s[0:1] offset:15360
	s_endpgm
	.section	.rodata,"a",@progbits
	.p2align	6, 0x0
	.amdhsa_kernel _Z6kernelI26subtract_left_partial_tileLj256ELj16ELb0EJPiS1_S1_jEEvDpT3_
		.amdhsa_group_segment_fixed_size 2048
		.amdhsa_private_segment_fixed_size 0
		.amdhsa_kernarg_size 28
		.amdhsa_user_sgpr_count 2
		.amdhsa_user_sgpr_dispatch_ptr 0
		.amdhsa_user_sgpr_queue_ptr 0
		.amdhsa_user_sgpr_kernarg_segment_ptr 1
		.amdhsa_user_sgpr_dispatch_id 0
		.amdhsa_user_sgpr_private_segment_size 0
		.amdhsa_wavefront_size32 1
		.amdhsa_uses_dynamic_stack 0
		.amdhsa_enable_private_segment 0
		.amdhsa_system_sgpr_workgroup_id_x 1
		.amdhsa_system_sgpr_workgroup_id_y 0
		.amdhsa_system_sgpr_workgroup_id_z 0
		.amdhsa_system_sgpr_workgroup_info 0
		.amdhsa_system_vgpr_workitem_id 0
		.amdhsa_next_free_vgpr 51
		.amdhsa_next_free_sgpr 12
		.amdhsa_reserve_vcc 1
		.amdhsa_float_round_mode_32 0
		.amdhsa_float_round_mode_16_64 0
		.amdhsa_float_denorm_mode_32 3
		.amdhsa_float_denorm_mode_16_64 3
		.amdhsa_fp16_overflow 0
		.amdhsa_workgroup_processor_mode 1
		.amdhsa_memory_ordered 1
		.amdhsa_forward_progress 1
		.amdhsa_inst_pref_size 11
		.amdhsa_round_robin_scheduling 0
		.amdhsa_exception_fp_ieee_invalid_op 0
		.amdhsa_exception_fp_denorm_src 0
		.amdhsa_exception_fp_ieee_div_zero 0
		.amdhsa_exception_fp_ieee_overflow 0
		.amdhsa_exception_fp_ieee_underflow 0
		.amdhsa_exception_fp_ieee_inexact 0
		.amdhsa_exception_int_div_zero 0
	.end_amdhsa_kernel
	.section	.text._Z6kernelI26subtract_left_partial_tileLj256ELj16ELb0EJPiS1_S1_jEEvDpT3_,"axG",@progbits,_Z6kernelI26subtract_left_partial_tileLj256ELj16ELb0EJPiS1_S1_jEEvDpT3_,comdat
.Lfunc_end124:
	.size	_Z6kernelI26subtract_left_partial_tileLj256ELj16ELb0EJPiS1_S1_jEEvDpT3_, .Lfunc_end124-_Z6kernelI26subtract_left_partial_tileLj256ELj16ELb0EJPiS1_S1_jEEvDpT3_
                                        ; -- End function
	.set _Z6kernelI26subtract_left_partial_tileLj256ELj16ELb0EJPiS1_S1_jEEvDpT3_.num_vgpr, 51
	.set _Z6kernelI26subtract_left_partial_tileLj256ELj16ELb0EJPiS1_S1_jEEvDpT3_.num_agpr, 0
	.set _Z6kernelI26subtract_left_partial_tileLj256ELj16ELb0EJPiS1_S1_jEEvDpT3_.numbered_sgpr, 12
	.set _Z6kernelI26subtract_left_partial_tileLj256ELj16ELb0EJPiS1_S1_jEEvDpT3_.num_named_barrier, 0
	.set _Z6kernelI26subtract_left_partial_tileLj256ELj16ELb0EJPiS1_S1_jEEvDpT3_.private_seg_size, 0
	.set _Z6kernelI26subtract_left_partial_tileLj256ELj16ELb0EJPiS1_S1_jEEvDpT3_.uses_vcc, 1
	.set _Z6kernelI26subtract_left_partial_tileLj256ELj16ELb0EJPiS1_S1_jEEvDpT3_.uses_flat_scratch, 0
	.set _Z6kernelI26subtract_left_partial_tileLj256ELj16ELb0EJPiS1_S1_jEEvDpT3_.has_dyn_sized_stack, 0
	.set _Z6kernelI26subtract_left_partial_tileLj256ELj16ELb0EJPiS1_S1_jEEvDpT3_.has_recursion, 0
	.set _Z6kernelI26subtract_left_partial_tileLj256ELj16ELb0EJPiS1_S1_jEEvDpT3_.has_indirect_call, 0
	.section	.AMDGPU.csdata,"",@progbits
; Kernel info:
; codeLenInByte = 1312
; TotalNumSgprs: 14
; NumVgprs: 51
; ScratchSize: 0
; MemoryBound: 0
; FloatMode: 240
; IeeeMode: 1
; LDSByteSize: 2048 bytes/workgroup (compile time only)
; SGPRBlocks: 0
; VGPRBlocks: 6
; NumSGPRsForWavesPerEU: 14
; NumVGPRsForWavesPerEU: 51
; Occupancy: 16
; WaveLimiterHint : 1
; COMPUTE_PGM_RSRC2:SCRATCH_EN: 0
; COMPUTE_PGM_RSRC2:USER_SGPR: 2
; COMPUTE_PGM_RSRC2:TRAP_HANDLER: 0
; COMPUTE_PGM_RSRC2:TGID_X_EN: 1
; COMPUTE_PGM_RSRC2:TGID_Y_EN: 0
; COMPUTE_PGM_RSRC2:TGID_Z_EN: 0
; COMPUTE_PGM_RSRC2:TIDIG_COMP_CNT: 0
	.section	.text._Z6kernelI26subtract_left_partial_tileLj256ELj32ELb0EJPiS1_S1_jEEvDpT3_,"axG",@progbits,_Z6kernelI26subtract_left_partial_tileLj256ELj32ELb0EJPiS1_S1_jEEvDpT3_,comdat
	.protected	_Z6kernelI26subtract_left_partial_tileLj256ELj32ELb0EJPiS1_S1_jEEvDpT3_ ; -- Begin function _Z6kernelI26subtract_left_partial_tileLj256ELj32ELb0EJPiS1_S1_jEEvDpT3_
	.globl	_Z6kernelI26subtract_left_partial_tileLj256ELj32ELb0EJPiS1_S1_jEEvDpT3_
	.p2align	8
	.type	_Z6kernelI26subtract_left_partial_tileLj256ELj32ELb0EJPiS1_S1_jEEvDpT3_,@function
_Z6kernelI26subtract_left_partial_tileLj256ELj32ELb0EJPiS1_S1_jEEvDpT3_: ; @_Z6kernelI26subtract_left_partial_tileLj256ELj32ELb0EJPiS1_S1_jEEvDpT3_
; %bb.0:
	s_load_b128 s[4:7], s[0:1], 0x0
	s_lshl_b32 s10, ttmp9, 13
	s_mov_b32 s11, 0
	v_lshlrev_b32_e32 v33, 2, v0
	s_lshl_b64 s[8:9], s[10:11], 2
	s_load_b96 s[0:2], s[0:1], 0x10
	s_mov_b32 s10, ttmp9
	v_cmp_ne_u32_e32 vcc_lo, 0, v0
	s_lshl_b64 s[10:11], s[10:11], 2
	v_add_nc_u32_e32 v66, -4, v33
	s_wait_kmcnt 0x0
	s_add_nc_u64 s[4:5], s[4:5], s[8:9]
	s_add_nc_u64 s[6:7], s[6:7], s[10:11]
	s_clause 0x1f
	global_load_b32 v32, v33, s[4:5]
	global_load_b32 v31, v33, s[4:5] offset:1024
	global_load_b32 v30, v33, s[4:5] offset:2048
	;; [unrolled: 1-line block ×31, first 2 shown]
	s_cvt_f32_u32 s3, s2
	s_sub_co_i32 s4, 0, s2
	s_delay_alu instid0(SALU_CYCLE_2) | instskip(NEXT) | instid1(TRANS32_DEP_1)
	v_rcp_iflag_f32_e32 v34, s3
	v_readfirstlane_b32 s3, v34
	v_lshlrev_b32_e32 v34, 5, v0
	s_mul_f32 s3, s3, 0x4f7ffffe
	s_delay_alu instid0(VALU_DEP_1)
	v_or_b32_e32 v35, 31, v34
	v_or_b32_e32 v36, 30, v34
	;; [unrolled: 1-line block ×3, first 2 shown]
	s_wait_alu 0xfffe
	s_cvt_u32_f32 s3, s3
	v_or_b32_e32 v38, 28, v34
	v_or_b32_e32 v39, 27, v34
	;; [unrolled: 1-line block ×3, first 2 shown]
	s_wait_alu 0xfffe
	s_mul_i32 s4, s4, s3
	v_or_b32_e32 v41, 25, v34
	s_mul_hi_u32 s5, s3, s4
	s_mov_b32 s4, s0
	s_add_co_i32 s3, s3, s5
	v_or_b32_e32 v42, 24, v34
	s_wait_alu 0xfffe
	s_lshr_b32 s0, s3, 19
	s_load_b32 s3, s[6:7], 0x0
	s_mul_i32 s5, s0, s2
	s_add_co_i32 s6, s0, 1
	s_sub_co_i32 s5, 0x2000, s5
	v_or_b32_e32 v43, 23, v34
	s_sub_co_i32 s7, s5, s2
	s_cmp_ge_u32 s5, s2
	v_or_b32_e32 v44, 22, v34
	s_cselect_b32 s0, s6, s0
	s_cselect_b32 s5, s7, s5
	s_add_co_i32 s6, s0, 1
	s_cmp_ge_u32 s5, s2
	v_or_b32_e32 v45, 21, v34
	v_or_b32_e32 v46, 20, v34
	;; [unrolled: 1-line block ×21, first 2 shown]
	s_cselect_b32 s0, s6, s0
	s_mov_b32 s5, s1
	s_add_co_i32 s1, s0, 1
	s_branch .LBB125_2
.LBB125_1:                              ;   in Loop: Header=BB125_2 Depth=1
	s_wait_alu 0xfffe
	s_or_b32 exec_lo, exec_lo, s0
	v_cmp_gt_u32_e64 s0, s3, v35
	s_add_co_i32 s2, s2, -1
	s_wait_loadcnt 0x0
	s_barrier_signal -1
	s_barrier_wait -1
	v_cndmask_b32_e64 v68, 0, v2, s0
	v_cmp_gt_u32_e64 s0, s3, v36
	global_inv scope:SCOPE_SE
	v_sub_nc_u32_e32 v68, v1, v68
	s_wait_alu 0xf1ff
	v_cndmask_b32_e64 v69, 0, v3, s0
	v_cmp_gt_u32_e64 s0, s3, v37
	s_delay_alu instid0(VALU_DEP_3) | instskip(NEXT) | instid1(VALU_DEP_3)
	v_add_nc_u32_e32 v1, v68, v1
	v_sub_nc_u32_e32 v69, v2, v69
	s_wait_alu 0xf1ff
	s_delay_alu instid0(VALU_DEP_3) | instskip(SKIP_1) | instid1(VALU_DEP_3)
	v_cndmask_b32_e64 v70, 0, v4, s0
	v_cmp_gt_u32_e64 s0, s3, v38
	v_add_nc_u32_e32 v2, v69, v2
	s_delay_alu instid0(VALU_DEP_3) | instskip(SKIP_1) | instid1(VALU_DEP_3)
	v_sub_nc_u32_e32 v70, v3, v70
	s_wait_alu 0xf1ff
	v_cndmask_b32_e64 v71, 0, v5, s0
	v_cmp_gt_u32_e64 s0, s3, v39
	s_delay_alu instid0(VALU_DEP_3) | instskip(NEXT) | instid1(VALU_DEP_3)
	v_add_nc_u32_e32 v3, v70, v3
	v_sub_nc_u32_e32 v71, v4, v71
	s_wait_alu 0xf1ff
	s_delay_alu instid0(VALU_DEP_3) | instskip(SKIP_1) | instid1(VALU_DEP_3)
	v_cndmask_b32_e64 v72, 0, v6, s0
	v_cmp_gt_u32_e64 s0, s3, v40
	v_add_nc_u32_e32 v4, v71, v4
	s_delay_alu instid0(VALU_DEP_3) | instskip(SKIP_1) | instid1(VALU_DEP_3)
	;; [unrolled: 13-line block ×9, first 2 shown]
	v_sub_nc_u32_e32 v86, v19, v86
	s_wait_alu 0xf1ff
	v_cndmask_b32_e64 v87, 0, v32, s0
	v_cmp_gt_u32_e64 s0, s3, v64
	v_add_nc_u32_e32 v32, v67, v32
	v_add_nc_u32_e32 v19, v86, v19
	s_delay_alu instid0(VALU_DEP_4) | instskip(SKIP_3) | instid1(VALU_DEP_3)
	v_sub_nc_u32_e32 v87, v31, v87
	s_wait_alu 0xf1ff
	v_cndmask_b32_e64 v88, 0, v31, s0
	v_cmp_gt_u32_e64 s0, s3, v63
	v_add_nc_u32_e32 v31, v87, v31
	s_delay_alu instid0(VALU_DEP_3) | instskip(SKIP_1) | instid1(VALU_DEP_3)
	v_sub_nc_u32_e32 v67, v30, v88
	s_wait_alu 0xf1ff
	v_cndmask_b32_e64 v89, 0, v30, s0
	v_cmp_gt_u32_e64 s0, s3, v62
	s_delay_alu instid0(VALU_DEP_3) | instskip(NEXT) | instid1(VALU_DEP_3)
	v_add_nc_u32_e32 v30, v67, v30
	v_sub_nc_u32_e32 v88, v29, v89
	s_wait_alu 0xf1ff
	s_delay_alu instid0(VALU_DEP_3) | instskip(SKIP_1) | instid1(VALU_DEP_3)
	v_cndmask_b32_e64 v87, 0, v29, s0
	v_cmp_gt_u32_e64 s0, s3, v61
	v_add_nc_u32_e32 v29, v88, v29
	s_delay_alu instid0(VALU_DEP_3) | instskip(SKIP_1) | instid1(VALU_DEP_3)
	v_sub_nc_u32_e32 v87, v28, v87
	s_wait_alu 0xf1ff
	v_cndmask_b32_e64 v89, 0, v28, s0
	v_cmp_gt_u32_e64 s0, s3, v60
	s_delay_alu instid0(VALU_DEP_3) | instskip(NEXT) | instid1(VALU_DEP_3)
	v_add_nc_u32_e32 v28, v87, v28
	v_sub_nc_u32_e32 v67, v27, v89
	s_wait_alu 0xf1ff
	s_delay_alu instid0(VALU_DEP_3) | instskip(SKIP_1) | instid1(VALU_DEP_3)
	;; [unrolled: 13-line block ×3, first 2 shown]
	v_cndmask_b32_e64 v89, 0, v25, s0
	v_cmp_gt_u32_e64 s0, s3, v57
	v_add_nc_u32_e32 v25, v87, v25
	s_delay_alu instid0(VALU_DEP_3) | instskip(SKIP_1) | instid1(VALU_DEP_3)
	v_sub_nc_u32_e32 v67, v24, v89
	s_wait_alu 0xf1ff
	v_cndmask_b32_e64 v90, 0, v24, s0
	v_cmp_gt_u32_e64 s0, s3, v55
	s_delay_alu instid0(VALU_DEP_3) | instskip(NEXT) | instid1(VALU_DEP_3)
	v_add_nc_u32_e32 v24, v67, v24
	v_sub_nc_u32_e32 v88, v23, v90
	s_wait_alu 0xf1ff
	s_delay_alu instid0(VALU_DEP_3) | instskip(SKIP_1) | instid1(VALU_DEP_2)
	v_cndmask_b32_e64 v87, 0, v22, s0
	v_cmp_gt_u32_e64 s0, s3, v56
	v_sub_nc_u32_e32 v87, v21, v87
	s_wait_alu 0xf1ff
	s_delay_alu instid0(VALU_DEP_2) | instskip(SKIP_2) | instid1(VALU_DEP_3)
	v_cndmask_b32_e64 v67, 0, v23, s0
	v_cmp_gt_u32_e64 s0, s3, v54
	v_add_nc_u32_e32 v23, v88, v23
	v_sub_nc_u32_e32 v67, v22, v67
	s_wait_alu 0xf1ff
	s_delay_alu instid0(VALU_DEP_3) | instskip(SKIP_3) | instid1(VALU_DEP_3)
	v_cndmask_b32_e64 v88, 0, v21, s0
	v_add_nc_u32_e32 v21, v87, v21
	s_add_co_i32 s0, s1, s3
	v_add_nc_u32_e32 v22, v67, v22
	v_sub_nc_u32_e32 v88, v20, v88
	s_wait_alu 0xfffe
	s_and_b32 s3, s0, 0x1fff
	s_cmp_lg_u32 s2, 0
	s_delay_alu instid0(VALU_DEP_1)
	v_add_nc_u32_e32 v20, v88, v20
	s_cbranch_scc0 .LBB125_4
.LBB125_2:                              ; =>This Inner Loop Header: Depth=1
	s_wait_kmcnt 0x0
	s_wait_alu 0xfffe
	v_cmp_gt_u32_e64 s0, s3, v34
	s_wait_loadcnt 0x1f
	v_mov_b32_e32 v67, v32
	s_wait_loadcnt 0x0
	ds_store_b32 v33, v1
	s_wait_dscnt 0x0
	s_barrier_signal -1
	s_and_b32 s6, vcc_lo, s0
	s_barrier_wait -1
	global_inv scope:SCOPE_SE
	s_and_saveexec_b32 s0, s6
	s_cbranch_execz .LBB125_1
; %bb.3:                                ;   in Loop: Header=BB125_2 Depth=1
	ds_load_b32 v67, v66
	s_wait_dscnt 0x0
	v_sub_nc_u32_e32 v67, v32, v67
	s_branch .LBB125_1
.LBB125_4:
	v_lshlrev_b32_e32 v0, 2, v0
	s_add_nc_u64 s[0:1], s[4:5], s[8:9]
	s_clause 0x1f
	global_store_b32 v0, v32, s[0:1]
	global_store_b32 v0, v31, s[0:1] offset:1024
	global_store_b32 v0, v30, s[0:1] offset:2048
	;; [unrolled: 1-line block ×31, first 2 shown]
	s_endpgm
	.section	.rodata,"a",@progbits
	.p2align	6, 0x0
	.amdhsa_kernel _Z6kernelI26subtract_left_partial_tileLj256ELj32ELb0EJPiS1_S1_jEEvDpT3_
		.amdhsa_group_segment_fixed_size 2048
		.amdhsa_private_segment_fixed_size 0
		.amdhsa_kernarg_size 28
		.amdhsa_user_sgpr_count 2
		.amdhsa_user_sgpr_dispatch_ptr 0
		.amdhsa_user_sgpr_queue_ptr 0
		.amdhsa_user_sgpr_kernarg_segment_ptr 1
		.amdhsa_user_sgpr_dispatch_id 0
		.amdhsa_user_sgpr_private_segment_size 0
		.amdhsa_wavefront_size32 1
		.amdhsa_uses_dynamic_stack 0
		.amdhsa_enable_private_segment 0
		.amdhsa_system_sgpr_workgroup_id_x 1
		.amdhsa_system_sgpr_workgroup_id_y 0
		.amdhsa_system_sgpr_workgroup_id_z 0
		.amdhsa_system_sgpr_workgroup_info 0
		.amdhsa_system_vgpr_workitem_id 0
		.amdhsa_next_free_vgpr 91
		.amdhsa_next_free_sgpr 12
		.amdhsa_reserve_vcc 1
		.amdhsa_float_round_mode_32 0
		.amdhsa_float_round_mode_16_64 0
		.amdhsa_float_denorm_mode_32 3
		.amdhsa_float_denorm_mode_16_64 3
		.amdhsa_fp16_overflow 0
		.amdhsa_workgroup_processor_mode 1
		.amdhsa_memory_ordered 1
		.amdhsa_forward_progress 1
		.amdhsa_inst_pref_size 18
		.amdhsa_round_robin_scheduling 0
		.amdhsa_exception_fp_ieee_invalid_op 0
		.amdhsa_exception_fp_denorm_src 0
		.amdhsa_exception_fp_ieee_div_zero 0
		.amdhsa_exception_fp_ieee_overflow 0
		.amdhsa_exception_fp_ieee_underflow 0
		.amdhsa_exception_fp_ieee_inexact 0
		.amdhsa_exception_int_div_zero 0
	.end_amdhsa_kernel
	.section	.text._Z6kernelI26subtract_left_partial_tileLj256ELj32ELb0EJPiS1_S1_jEEvDpT3_,"axG",@progbits,_Z6kernelI26subtract_left_partial_tileLj256ELj32ELb0EJPiS1_S1_jEEvDpT3_,comdat
.Lfunc_end125:
	.size	_Z6kernelI26subtract_left_partial_tileLj256ELj32ELb0EJPiS1_S1_jEEvDpT3_, .Lfunc_end125-_Z6kernelI26subtract_left_partial_tileLj256ELj32ELb0EJPiS1_S1_jEEvDpT3_
                                        ; -- End function
	.set _Z6kernelI26subtract_left_partial_tileLj256ELj32ELb0EJPiS1_S1_jEEvDpT3_.num_vgpr, 91
	.set _Z6kernelI26subtract_left_partial_tileLj256ELj32ELb0EJPiS1_S1_jEEvDpT3_.num_agpr, 0
	.set _Z6kernelI26subtract_left_partial_tileLj256ELj32ELb0EJPiS1_S1_jEEvDpT3_.numbered_sgpr, 12
	.set _Z6kernelI26subtract_left_partial_tileLj256ELj32ELb0EJPiS1_S1_jEEvDpT3_.num_named_barrier, 0
	.set _Z6kernelI26subtract_left_partial_tileLj256ELj32ELb0EJPiS1_S1_jEEvDpT3_.private_seg_size, 0
	.set _Z6kernelI26subtract_left_partial_tileLj256ELj32ELb0EJPiS1_S1_jEEvDpT3_.uses_vcc, 1
	.set _Z6kernelI26subtract_left_partial_tileLj256ELj32ELb0EJPiS1_S1_jEEvDpT3_.uses_flat_scratch, 0
	.set _Z6kernelI26subtract_left_partial_tileLj256ELj32ELb0EJPiS1_S1_jEEvDpT3_.has_dyn_sized_stack, 0
	.set _Z6kernelI26subtract_left_partial_tileLj256ELj32ELb0EJPiS1_S1_jEEvDpT3_.has_recursion, 0
	.set _Z6kernelI26subtract_left_partial_tileLj256ELj32ELb0EJPiS1_S1_jEEvDpT3_.has_indirect_call, 0
	.section	.AMDGPU.csdata,"",@progbits
; Kernel info:
; codeLenInByte = 2300
; TotalNumSgprs: 14
; NumVgprs: 91
; ScratchSize: 0
; MemoryBound: 0
; FloatMode: 240
; IeeeMode: 1
; LDSByteSize: 2048 bytes/workgroup (compile time only)
; SGPRBlocks: 0
; VGPRBlocks: 11
; NumSGPRsForWavesPerEU: 14
; NumVGPRsForWavesPerEU: 91
; Occupancy: 16
; WaveLimiterHint : 1
; COMPUTE_PGM_RSRC2:SCRATCH_EN: 0
; COMPUTE_PGM_RSRC2:USER_SGPR: 2
; COMPUTE_PGM_RSRC2:TRAP_HANDLER: 0
; COMPUTE_PGM_RSRC2:TGID_X_EN: 1
; COMPUTE_PGM_RSRC2:TGID_Y_EN: 0
; COMPUTE_PGM_RSRC2:TGID_Z_EN: 0
; COMPUTE_PGM_RSRC2:TIDIG_COMP_CNT: 0
	.section	.text._Z6kernelI26subtract_left_partial_tileLj256ELj1ELb0EJPfPiS1_jEEvDpT3_,"axG",@progbits,_Z6kernelI26subtract_left_partial_tileLj256ELj1ELb0EJPfPiS1_jEEvDpT3_,comdat
	.protected	_Z6kernelI26subtract_left_partial_tileLj256ELj1ELb0EJPfPiS1_jEEvDpT3_ ; -- Begin function _Z6kernelI26subtract_left_partial_tileLj256ELj1ELb0EJPfPiS1_jEEvDpT3_
	.globl	_Z6kernelI26subtract_left_partial_tileLj256ELj1ELb0EJPfPiS1_jEEvDpT3_
	.p2align	8
	.type	_Z6kernelI26subtract_left_partial_tileLj256ELj1ELb0EJPfPiS1_jEEvDpT3_,@function
_Z6kernelI26subtract_left_partial_tileLj256ELj1ELb0EJPfPiS1_jEEvDpT3_: ; @_Z6kernelI26subtract_left_partial_tileLj256ELj1ELb0EJPfPiS1_jEEvDpT3_
; %bb.0:
	s_load_b128 s[8:11], s[0:1], 0x0
	s_lshl_b32 s6, ttmp9, 8
	s_mov_b32 s7, 0
	v_lshlrev_b32_e32 v2, 2, v0
	s_lshl_b64 s[4:5], s[6:7], 2
	s_load_b96 s[0:2], s[0:1], 0x10
	v_cmp_ne_u32_e32 vcc_lo, 0, v0
	s_wait_kmcnt 0x0
	s_add_nc_u64 s[8:9], s[8:9], s[4:5]
	global_load_b32 v1, v2, s[8:9]
	s_cvt_f32_u32 s3, s2
	s_sub_co_i32 s6, 0, s2
	s_delay_alu instid0(SALU_CYCLE_2) | instskip(NEXT) | instid1(TRANS32_DEP_1)
	v_rcp_iflag_f32_e32 v3, s3
	v_readfirstlane_b32 s3, v3
	v_add_nc_u32_e32 v3, -4, v2
	s_mul_f32 s3, s3, 0x4f7ffffe
	s_wait_alu 0xfffe
	s_delay_alu instid0(SALU_CYCLE_2) | instskip(SKIP_1) | instid1(SALU_CYCLE_2)
	s_cvt_u32_f32 s3, s3
	s_wait_alu 0xfffe
	s_mul_i32 s8, s6, s3
	s_mov_b32 s6, ttmp9
	s_mul_hi_u32 s8, s3, s8
	s_lshl_b64 s[6:7], s[6:7], 2
	s_add_co_i32 s8, s3, s8
	s_add_nc_u64 s[6:7], s[10:11], s[6:7]
	s_load_b32 s3, s[6:7], 0x0
	s_lshr_b32 s7, s8, 24
	s_delay_alu instid0(SALU_CYCLE_1)
	s_mul_i32 s6, s7, s2
	s_add_co_i32 s9, s7, 1
	s_sub_co_i32 s8, 0x100, s6
	s_mov_b32 s6, s0
	s_sub_co_i32 s10, s8, s2
	s_cmp_ge_u32 s8, s2
	s_cselect_b32 s0, s9, s7
	s_cselect_b32 s7, s10, s8
	s_add_co_i32 s8, s0, 1
	s_cmp_ge_u32 s7, s2
	s_mov_b32 s7, s1
	s_cselect_b32 s0, s8, s0
	s_delay_alu instid0(SALU_CYCLE_1)
	s_add_co_i32 s1, s0, 1
	s_branch .LBB126_2
.LBB126_1:                              ;   in Loop: Header=BB126_2 Depth=1
	s_or_b32 exec_lo, exec_lo, s0
	s_add_co_i32 s0, s1, s3
	s_delay_alu instid0(VALU_DEP_1)
	v_add_f32_e32 v1, v1, v4
	s_add_co_i32 s2, s2, -1
	s_and_b32 s3, s0, 0xff
	s_wait_alu 0xfffe
	s_cmp_lg_u32 s2, 0
	s_wait_loadcnt 0x0
	s_barrier_signal -1
	s_barrier_wait -1
	global_inv scope:SCOPE_SE
	s_cbranch_scc0 .LBB126_4
.LBB126_2:                              ; =>This Inner Loop Header: Depth=1
	s_wait_kmcnt 0x0
	v_cmp_gt_u32_e64 s0, s3, v0
	s_wait_loadcnt 0x0
	v_mov_b32_e32 v4, v1
	ds_store_b32 v2, v1
	s_wait_dscnt 0x0
	s_barrier_signal -1
	s_and_b32 s8, vcc_lo, s0
	s_barrier_wait -1
	global_inv scope:SCOPE_SE
	s_and_saveexec_b32 s0, s8
	s_cbranch_execz .LBB126_1
; %bb.3:                                ;   in Loop: Header=BB126_2 Depth=1
	ds_load_b32 v4, v3
	s_wait_dscnt 0x0
	v_sub_f32_e32 v4, v1, v4
	s_branch .LBB126_1
.LBB126_4:
	v_lshlrev_b32_e32 v0, 2, v0
	s_add_nc_u64 s[0:1], s[6:7], s[4:5]
	global_store_b32 v0, v1, s[0:1]
	s_endpgm
	.section	.rodata,"a",@progbits
	.p2align	6, 0x0
	.amdhsa_kernel _Z6kernelI26subtract_left_partial_tileLj256ELj1ELb0EJPfPiS1_jEEvDpT3_
		.amdhsa_group_segment_fixed_size 2048
		.amdhsa_private_segment_fixed_size 0
		.amdhsa_kernarg_size 28
		.amdhsa_user_sgpr_count 2
		.amdhsa_user_sgpr_dispatch_ptr 0
		.amdhsa_user_sgpr_queue_ptr 0
		.amdhsa_user_sgpr_kernarg_segment_ptr 1
		.amdhsa_user_sgpr_dispatch_id 0
		.amdhsa_user_sgpr_private_segment_size 0
		.amdhsa_wavefront_size32 1
		.amdhsa_uses_dynamic_stack 0
		.amdhsa_enable_private_segment 0
		.amdhsa_system_sgpr_workgroup_id_x 1
		.amdhsa_system_sgpr_workgroup_id_y 0
		.amdhsa_system_sgpr_workgroup_id_z 0
		.amdhsa_system_sgpr_workgroup_info 0
		.amdhsa_system_vgpr_workitem_id 0
		.amdhsa_next_free_vgpr 5
		.amdhsa_next_free_sgpr 12
		.amdhsa_reserve_vcc 1
		.amdhsa_float_round_mode_32 0
		.amdhsa_float_round_mode_16_64 0
		.amdhsa_float_denorm_mode_32 3
		.amdhsa_float_denorm_mode_16_64 3
		.amdhsa_fp16_overflow 0
		.amdhsa_workgroup_processor_mode 1
		.amdhsa_memory_ordered 1
		.amdhsa_forward_progress 1
		.amdhsa_inst_pref_size 3
		.amdhsa_round_robin_scheduling 0
		.amdhsa_exception_fp_ieee_invalid_op 0
		.amdhsa_exception_fp_denorm_src 0
		.amdhsa_exception_fp_ieee_div_zero 0
		.amdhsa_exception_fp_ieee_overflow 0
		.amdhsa_exception_fp_ieee_underflow 0
		.amdhsa_exception_fp_ieee_inexact 0
		.amdhsa_exception_int_div_zero 0
	.end_amdhsa_kernel
	.section	.text._Z6kernelI26subtract_left_partial_tileLj256ELj1ELb0EJPfPiS1_jEEvDpT3_,"axG",@progbits,_Z6kernelI26subtract_left_partial_tileLj256ELj1ELb0EJPfPiS1_jEEvDpT3_,comdat
.Lfunc_end126:
	.size	_Z6kernelI26subtract_left_partial_tileLj256ELj1ELb0EJPfPiS1_jEEvDpT3_, .Lfunc_end126-_Z6kernelI26subtract_left_partial_tileLj256ELj1ELb0EJPfPiS1_jEEvDpT3_
                                        ; -- End function
	.set _Z6kernelI26subtract_left_partial_tileLj256ELj1ELb0EJPfPiS1_jEEvDpT3_.num_vgpr, 5
	.set _Z6kernelI26subtract_left_partial_tileLj256ELj1ELb0EJPfPiS1_jEEvDpT3_.num_agpr, 0
	.set _Z6kernelI26subtract_left_partial_tileLj256ELj1ELb0EJPfPiS1_jEEvDpT3_.numbered_sgpr, 12
	.set _Z6kernelI26subtract_left_partial_tileLj256ELj1ELb0EJPfPiS1_jEEvDpT3_.num_named_barrier, 0
	.set _Z6kernelI26subtract_left_partial_tileLj256ELj1ELb0EJPfPiS1_jEEvDpT3_.private_seg_size, 0
	.set _Z6kernelI26subtract_left_partial_tileLj256ELj1ELb0EJPfPiS1_jEEvDpT3_.uses_vcc, 1
	.set _Z6kernelI26subtract_left_partial_tileLj256ELj1ELb0EJPfPiS1_jEEvDpT3_.uses_flat_scratch, 0
	.set _Z6kernelI26subtract_left_partial_tileLj256ELj1ELb0EJPfPiS1_jEEvDpT3_.has_dyn_sized_stack, 0
	.set _Z6kernelI26subtract_left_partial_tileLj256ELj1ELb0EJPfPiS1_jEEvDpT3_.has_recursion, 0
	.set _Z6kernelI26subtract_left_partial_tileLj256ELj1ELb0EJPfPiS1_jEEvDpT3_.has_indirect_call, 0
	.section	.AMDGPU.csdata,"",@progbits
; Kernel info:
; codeLenInByte = 380
; TotalNumSgprs: 14
; NumVgprs: 5
; ScratchSize: 0
; MemoryBound: 0
; FloatMode: 240
; IeeeMode: 1
; LDSByteSize: 2048 bytes/workgroup (compile time only)
; SGPRBlocks: 0
; VGPRBlocks: 0
; NumSGPRsForWavesPerEU: 14
; NumVGPRsForWavesPerEU: 5
; Occupancy: 16
; WaveLimiterHint : 0
; COMPUTE_PGM_RSRC2:SCRATCH_EN: 0
; COMPUTE_PGM_RSRC2:USER_SGPR: 2
; COMPUTE_PGM_RSRC2:TRAP_HANDLER: 0
; COMPUTE_PGM_RSRC2:TGID_X_EN: 1
; COMPUTE_PGM_RSRC2:TGID_Y_EN: 0
; COMPUTE_PGM_RSRC2:TGID_Z_EN: 0
; COMPUTE_PGM_RSRC2:TIDIG_COMP_CNT: 0
	.section	.text._Z6kernelI26subtract_left_partial_tileLj256ELj3ELb0EJPfPiS1_jEEvDpT3_,"axG",@progbits,_Z6kernelI26subtract_left_partial_tileLj256ELj3ELb0EJPfPiS1_jEEvDpT3_,comdat
	.protected	_Z6kernelI26subtract_left_partial_tileLj256ELj3ELb0EJPfPiS1_jEEvDpT3_ ; -- Begin function _Z6kernelI26subtract_left_partial_tileLj256ELj3ELb0EJPfPiS1_jEEvDpT3_
	.globl	_Z6kernelI26subtract_left_partial_tileLj256ELj3ELb0EJPfPiS1_jEEvDpT3_
	.p2align	8
	.type	_Z6kernelI26subtract_left_partial_tileLj256ELj3ELb0EJPfPiS1_jEEvDpT3_,@function
_Z6kernelI26subtract_left_partial_tileLj256ELj3ELb0EJPfPiS1_jEEvDpT3_: ; @_Z6kernelI26subtract_left_partial_tileLj256ELj3ELb0EJPfPiS1_jEEvDpT3_
; %bb.0:
	s_load_b128 s[8:11], s[0:1], 0x0
	s_mul_i32 s6, ttmp9, 0x300
	s_mov_b32 s7, 0
	v_lshlrev_b32_e32 v4, 2, v0
	s_lshl_b64 s[4:5], s[6:7], 2
	s_load_b96 s[0:2], s[0:1], 0x10
	v_mad_u32_u24 v6, v0, 3, 2
	v_mad_u32_u24 v7, v0, 3, 1
	v_add_nc_u32_e32 v8, -4, v4
	v_cmp_ne_u32_e32 vcc_lo, 0, v0
	s_wait_kmcnt 0x0
	s_add_nc_u64 s[8:9], s[8:9], s[4:5]
	s_clause 0x2
	global_load_b32 v1, v4, s[8:9]
	global_load_b32 v2, v4, s[8:9] offset:1024
	global_load_b32 v3, v4, s[8:9] offset:2048
	s_cvt_f32_u32 s3, s2
	s_sub_co_i32 s6, 0, s2
	s_delay_alu instid0(SALU_CYCLE_2) | instskip(NEXT) | instid1(TRANS32_DEP_1)
	v_rcp_iflag_f32_e32 v5, s3
	v_readfirstlane_b32 s3, v5
	v_mul_u32_u24_e32 v5, 3, v0
	s_mul_f32 s3, s3, 0x4f7ffffe
	s_wait_alu 0xfffe
	s_delay_alu instid0(SALU_CYCLE_2) | instskip(SKIP_1) | instid1(SALU_CYCLE_2)
	s_cvt_u32_f32 s3, s3
	s_wait_alu 0xfffe
	s_mul_i32 s6, s6, s3
	s_delay_alu instid0(SALU_CYCLE_1)
	s_mul_hi_u32 s8, s3, s6
	s_mov_b32 s6, ttmp9
	s_add_co_i32 s3, s3, s8
	s_lshl_b64 s[6:7], s[6:7], 2
	s_wait_alu 0xfffe
	s_mul_hi_u32 s8, s3, 0x300
	s_add_nc_u64 s[6:7], s[10:11], s[6:7]
	s_add_co_i32 s9, s8, 1
	s_load_b32 s3, s[6:7], 0x0
	s_mul_i32 s6, s8, s2
	s_delay_alu instid0(SALU_CYCLE_1)
	s_sub_co_i32 s7, 0x300, s6
	s_mov_b32 s6, s0
	s_sub_co_i32 s10, s7, s2
	s_cmp_ge_u32 s7, s2
	s_cselect_b32 s0, s9, s8
	s_cselect_b32 s7, s10, s7
	s_add_co_i32 s8, s0, 1
	s_cmp_ge_u32 s7, s2
	s_mov_b32 s7, s1
	s_cselect_b32 s0, s8, s0
	s_delay_alu instid0(SALU_CYCLE_1)
	s_add_co_i32 s1, s0, 1
	s_branch .LBB127_2
.LBB127_1:                              ;   in Loop: Header=BB127_2 Depth=1
	s_wait_alu 0xfffe
	s_or_b32 exec_lo, exec_lo, s0
	s_add_co_i32 s0, s1, s3
	v_dual_add_f32 v1, v1, v11 :: v_dual_add_f32 v2, v2, v10
	s_wait_alu 0xfffe
	s_mul_hi_u32 s3, s0, 0xaaaaaaab
	v_add_f32_e32 v3, v3, v9
	s_wait_alu 0xfffe
	s_lshr_b32 s3, s3, 9
	s_add_co_i32 s2, s2, -1
	s_wait_alu 0xfffe
	s_mulk_i32 s3, 0x300
	s_wait_loadcnt 0x0
	s_wait_alu 0xfffe
	s_sub_co_i32 s3, s0, s3
	s_cmp_lg_u32 s2, 0
	s_barrier_signal -1
	s_barrier_wait -1
	global_inv scope:SCOPE_SE
	s_cbranch_scc0 .LBB127_4
.LBB127_2:                              ; =>This Inner Loop Header: Depth=1
	s_wait_loadcnt 0x0
	v_dual_sub_f32 v9, v3, v2 :: v_dual_sub_f32 v10, v2, v1
	s_wait_kmcnt 0x0
	s_wait_alu 0xfffe
	v_cmp_gt_u32_e64 s0, s3, v6
	v_mov_b32_e32 v11, v1
	ds_store_b32 v4, v3
	s_wait_dscnt 0x0
	s_barrier_signal -1
	s_wait_alu 0xf1ff
	v_cndmask_b32_e64 v9, v3, v9, s0
	v_cmp_gt_u32_e64 s0, s3, v7
	s_barrier_wait -1
	global_inv scope:SCOPE_SE
	s_wait_alu 0xf1ff
	v_cndmask_b32_e64 v10, v2, v10, s0
	v_cmp_gt_u32_e64 s0, s3, v5
	s_and_b32 s8, vcc_lo, s0
	s_delay_alu instid0(SALU_CYCLE_1)
	s_and_saveexec_b32 s0, s8
	s_cbranch_execz .LBB127_1
; %bb.3:                                ;   in Loop: Header=BB127_2 Depth=1
	ds_load_b32 v11, v8
	s_wait_dscnt 0x0
	v_sub_f32_e32 v11, v1, v11
	s_branch .LBB127_1
.LBB127_4:
	v_lshlrev_b32_e32 v0, 2, v0
	s_add_nc_u64 s[0:1], s[6:7], s[4:5]
	s_clause 0x2
	global_store_b32 v0, v1, s[0:1]
	global_store_b32 v0, v2, s[0:1] offset:1024
	global_store_b32 v0, v3, s[0:1] offset:2048
	s_endpgm
	.section	.rodata,"a",@progbits
	.p2align	6, 0x0
	.amdhsa_kernel _Z6kernelI26subtract_left_partial_tileLj256ELj3ELb0EJPfPiS1_jEEvDpT3_
		.amdhsa_group_segment_fixed_size 2048
		.amdhsa_private_segment_fixed_size 0
		.amdhsa_kernarg_size 28
		.amdhsa_user_sgpr_count 2
		.amdhsa_user_sgpr_dispatch_ptr 0
		.amdhsa_user_sgpr_queue_ptr 0
		.amdhsa_user_sgpr_kernarg_segment_ptr 1
		.amdhsa_user_sgpr_dispatch_id 0
		.amdhsa_user_sgpr_private_segment_size 0
		.amdhsa_wavefront_size32 1
		.amdhsa_uses_dynamic_stack 0
		.amdhsa_enable_private_segment 0
		.amdhsa_system_sgpr_workgroup_id_x 1
		.amdhsa_system_sgpr_workgroup_id_y 0
		.amdhsa_system_sgpr_workgroup_id_z 0
		.amdhsa_system_sgpr_workgroup_info 0
		.amdhsa_system_vgpr_workitem_id 0
		.amdhsa_next_free_vgpr 12
		.amdhsa_next_free_sgpr 12
		.amdhsa_reserve_vcc 1
		.amdhsa_float_round_mode_32 0
		.amdhsa_float_round_mode_16_64 0
		.amdhsa_float_denorm_mode_32 3
		.amdhsa_float_denorm_mode_16_64 3
		.amdhsa_fp16_overflow 0
		.amdhsa_workgroup_processor_mode 1
		.amdhsa_memory_ordered 1
		.amdhsa_forward_progress 1
		.amdhsa_inst_pref_size 5
		.amdhsa_round_robin_scheduling 0
		.amdhsa_exception_fp_ieee_invalid_op 0
		.amdhsa_exception_fp_denorm_src 0
		.amdhsa_exception_fp_ieee_div_zero 0
		.amdhsa_exception_fp_ieee_overflow 0
		.amdhsa_exception_fp_ieee_underflow 0
		.amdhsa_exception_fp_ieee_inexact 0
		.amdhsa_exception_int_div_zero 0
	.end_amdhsa_kernel
	.section	.text._Z6kernelI26subtract_left_partial_tileLj256ELj3ELb0EJPfPiS1_jEEvDpT3_,"axG",@progbits,_Z6kernelI26subtract_left_partial_tileLj256ELj3ELb0EJPfPiS1_jEEvDpT3_,comdat
.Lfunc_end127:
	.size	_Z6kernelI26subtract_left_partial_tileLj256ELj3ELb0EJPfPiS1_jEEvDpT3_, .Lfunc_end127-_Z6kernelI26subtract_left_partial_tileLj256ELj3ELb0EJPfPiS1_jEEvDpT3_
                                        ; -- End function
	.set _Z6kernelI26subtract_left_partial_tileLj256ELj3ELb0EJPfPiS1_jEEvDpT3_.num_vgpr, 12
	.set _Z6kernelI26subtract_left_partial_tileLj256ELj3ELb0EJPfPiS1_jEEvDpT3_.num_agpr, 0
	.set _Z6kernelI26subtract_left_partial_tileLj256ELj3ELb0EJPfPiS1_jEEvDpT3_.numbered_sgpr, 12
	.set _Z6kernelI26subtract_left_partial_tileLj256ELj3ELb0EJPfPiS1_jEEvDpT3_.num_named_barrier, 0
	.set _Z6kernelI26subtract_left_partial_tileLj256ELj3ELb0EJPfPiS1_jEEvDpT3_.private_seg_size, 0
	.set _Z6kernelI26subtract_left_partial_tileLj256ELj3ELb0EJPfPiS1_jEEvDpT3_.uses_vcc, 1
	.set _Z6kernelI26subtract_left_partial_tileLj256ELj3ELb0EJPfPiS1_jEEvDpT3_.uses_flat_scratch, 0
	.set _Z6kernelI26subtract_left_partial_tileLj256ELj3ELb0EJPfPiS1_jEEvDpT3_.has_dyn_sized_stack, 0
	.set _Z6kernelI26subtract_left_partial_tileLj256ELj3ELb0EJPfPiS1_jEEvDpT3_.has_recursion, 0
	.set _Z6kernelI26subtract_left_partial_tileLj256ELj3ELb0EJPfPiS1_jEEvDpT3_.has_indirect_call, 0
	.section	.AMDGPU.csdata,"",@progbits
; Kernel info:
; codeLenInByte = 560
; TotalNumSgprs: 14
; NumVgprs: 12
; ScratchSize: 0
; MemoryBound: 0
; FloatMode: 240
; IeeeMode: 1
; LDSByteSize: 2048 bytes/workgroup (compile time only)
; SGPRBlocks: 0
; VGPRBlocks: 1
; NumSGPRsForWavesPerEU: 14
; NumVGPRsForWavesPerEU: 12
; Occupancy: 16
; WaveLimiterHint : 1
; COMPUTE_PGM_RSRC2:SCRATCH_EN: 0
; COMPUTE_PGM_RSRC2:USER_SGPR: 2
; COMPUTE_PGM_RSRC2:TRAP_HANDLER: 0
; COMPUTE_PGM_RSRC2:TGID_X_EN: 1
; COMPUTE_PGM_RSRC2:TGID_Y_EN: 0
; COMPUTE_PGM_RSRC2:TGID_Z_EN: 0
; COMPUTE_PGM_RSRC2:TIDIG_COMP_CNT: 0
	.section	.text._Z6kernelI26subtract_left_partial_tileLj256ELj4ELb0EJPfPiS1_jEEvDpT3_,"axG",@progbits,_Z6kernelI26subtract_left_partial_tileLj256ELj4ELb0EJPfPiS1_jEEvDpT3_,comdat
	.protected	_Z6kernelI26subtract_left_partial_tileLj256ELj4ELb0EJPfPiS1_jEEvDpT3_ ; -- Begin function _Z6kernelI26subtract_left_partial_tileLj256ELj4ELb0EJPfPiS1_jEEvDpT3_
	.globl	_Z6kernelI26subtract_left_partial_tileLj256ELj4ELb0EJPfPiS1_jEEvDpT3_
	.p2align	8
	.type	_Z6kernelI26subtract_left_partial_tileLj256ELj4ELb0EJPfPiS1_jEEvDpT3_,@function
_Z6kernelI26subtract_left_partial_tileLj256ELj4ELb0EJPfPiS1_jEEvDpT3_: ; @_Z6kernelI26subtract_left_partial_tileLj256ELj4ELb0EJPfPiS1_jEEvDpT3_
; %bb.0:
	s_load_b128 s[8:11], s[0:1], 0x0
	s_lshl_b32 s6, ttmp9, 10
	s_mov_b32 s7, 0
	v_lshlrev_b32_e32 v5, 2, v0
	s_lshl_b64 s[4:5], s[6:7], 2
	s_load_b96 s[0:2], s[0:1], 0x10
	v_cmp_ne_u32_e32 vcc_lo, 0, v0
	s_delay_alu instid0(VALU_DEP_2)
	v_or_b32_e32 v7, 2, v5
	v_or_b32_e32 v8, 1, v5
	v_add_nc_u32_e32 v9, -4, v5
	s_wait_kmcnt 0x0
	s_add_nc_u64 s[8:9], s[8:9], s[4:5]
	s_clause 0x3
	global_load_b32 v1, v5, s[8:9]
	global_load_b32 v2, v5, s[8:9] offset:1024
	global_load_b32 v3, v5, s[8:9] offset:2048
	;; [unrolled: 1-line block ×3, first 2 shown]
	s_cvt_f32_u32 s3, s2
	s_sub_co_i32 s6, 0, s2
	s_delay_alu instid0(SALU_CYCLE_2) | instskip(NEXT) | instid1(TRANS32_DEP_1)
	v_rcp_iflag_f32_e32 v6, s3
	v_readfirstlane_b32 s3, v6
	v_or_b32_e32 v6, 3, v5
	s_mul_f32 s3, s3, 0x4f7ffffe
	s_wait_alu 0xfffe
	s_delay_alu instid0(SALU_CYCLE_2) | instskip(SKIP_1) | instid1(SALU_CYCLE_2)
	s_cvt_u32_f32 s3, s3
	s_wait_alu 0xfffe
	s_mul_i32 s6, s6, s3
	s_delay_alu instid0(SALU_CYCLE_1)
	s_mul_hi_u32 s8, s3, s6
	s_mov_b32 s6, ttmp9
	s_add_co_i32 s3, s3, s8
	s_lshl_b64 s[6:7], s[6:7], 2
	s_wait_alu 0xfffe
	s_lshr_b32 s8, s3, 22
	s_add_nc_u64 s[6:7], s[10:11], s[6:7]
	s_add_co_i32 s9, s8, 1
	s_load_b32 s3, s[6:7], 0x0
	s_mul_i32 s6, s8, s2
	s_delay_alu instid0(SALU_CYCLE_1)
	s_sub_co_i32 s7, 0x400, s6
	s_mov_b32 s6, s0
	s_sub_co_i32 s10, s7, s2
	s_cmp_ge_u32 s7, s2
	s_cselect_b32 s0, s9, s8
	s_cselect_b32 s7, s10, s7
	s_add_co_i32 s8, s0, 1
	s_cmp_ge_u32 s7, s2
	s_mov_b32 s7, s1
	s_cselect_b32 s0, s8, s0
	s_delay_alu instid0(SALU_CYCLE_1)
	s_add_co_i32 s1, s0, 1
	s_branch .LBB128_2
.LBB128_1:                              ;   in Loop: Header=BB128_2 Depth=1
	s_wait_alu 0xfffe
	s_or_b32 exec_lo, exec_lo, s0
	s_delay_alu instid0(VALU_DEP_1)
	v_dual_add_f32 v1, v1, v13 :: v_dual_add_f32 v2, v2, v12
	v_dual_add_f32 v3, v3, v11 :: v_dual_add_f32 v4, v4, v10
	s_add_co_i32 s0, s1, s3
	s_add_co_i32 s2, s2, -1
	s_wait_alu 0xfffe
	s_and_b32 s3, s0, 0x3ff
	s_cmp_lg_u32 s2, 0
	s_wait_loadcnt 0x0
	s_barrier_signal -1
	s_barrier_wait -1
	global_inv scope:SCOPE_SE
	s_cbranch_scc0 .LBB128_4
.LBB128_2:                              ; =>This Inner Loop Header: Depth=1
	s_wait_loadcnt 0x0
	v_dual_sub_f32 v10, v4, v3 :: v_dual_sub_f32 v11, v3, v2
	s_wait_kmcnt 0x0
	s_wait_alu 0xfffe
	v_cmp_gt_u32_e64 s0, s3, v6
	v_dual_sub_f32 v12, v2, v1 :: v_dual_mov_b32 v13, v1
	ds_store_b32 v5, v4
	s_wait_dscnt 0x0
	s_wait_alu 0xf1ff
	v_cndmask_b32_e64 v10, v4, v10, s0
	v_cmp_gt_u32_e64 s0, s3, v7
	s_barrier_signal -1
	s_barrier_wait -1
	global_inv scope:SCOPE_SE
	s_wait_alu 0xf1ff
	v_cndmask_b32_e64 v11, v3, v11, s0
	v_cmp_gt_u32_e64 s0, s3, v8
	s_wait_alu 0xf1ff
	s_delay_alu instid0(VALU_DEP_1) | instskip(SKIP_2) | instid1(SALU_CYCLE_1)
	v_cndmask_b32_e64 v12, v2, v12, s0
	v_cmp_gt_u32_e64 s0, s3, v5
	s_and_b32 s8, vcc_lo, s0
	s_and_saveexec_b32 s0, s8
	s_cbranch_execz .LBB128_1
; %bb.3:                                ;   in Loop: Header=BB128_2 Depth=1
	ds_load_b32 v13, v9
	s_wait_dscnt 0x0
	v_sub_f32_e32 v13, v1, v13
	s_branch .LBB128_1
.LBB128_4:
	v_lshlrev_b32_e32 v0, 2, v0
	s_add_nc_u64 s[0:1], s[6:7], s[4:5]
	s_clause 0x3
	global_store_b32 v0, v1, s[0:1]
	global_store_b32 v0, v2, s[0:1] offset:1024
	global_store_b32 v0, v3, s[0:1] offset:2048
	;; [unrolled: 1-line block ×3, first 2 shown]
	s_endpgm
	.section	.rodata,"a",@progbits
	.p2align	6, 0x0
	.amdhsa_kernel _Z6kernelI26subtract_left_partial_tileLj256ELj4ELb0EJPfPiS1_jEEvDpT3_
		.amdhsa_group_segment_fixed_size 2048
		.amdhsa_private_segment_fixed_size 0
		.amdhsa_kernarg_size 28
		.amdhsa_user_sgpr_count 2
		.amdhsa_user_sgpr_dispatch_ptr 0
		.amdhsa_user_sgpr_queue_ptr 0
		.amdhsa_user_sgpr_kernarg_segment_ptr 1
		.amdhsa_user_sgpr_dispatch_id 0
		.amdhsa_user_sgpr_private_segment_size 0
		.amdhsa_wavefront_size32 1
		.amdhsa_uses_dynamic_stack 0
		.amdhsa_enable_private_segment 0
		.amdhsa_system_sgpr_workgroup_id_x 1
		.amdhsa_system_sgpr_workgroup_id_y 0
		.amdhsa_system_sgpr_workgroup_id_z 0
		.amdhsa_system_sgpr_workgroup_info 0
		.amdhsa_system_vgpr_workitem_id 0
		.amdhsa_next_free_vgpr 14
		.amdhsa_next_free_sgpr 12
		.amdhsa_reserve_vcc 1
		.amdhsa_float_round_mode_32 0
		.amdhsa_float_round_mode_16_64 0
		.amdhsa_float_denorm_mode_32 3
		.amdhsa_float_denorm_mode_16_64 3
		.amdhsa_fp16_overflow 0
		.amdhsa_workgroup_processor_mode 1
		.amdhsa_memory_ordered 1
		.amdhsa_forward_progress 1
		.amdhsa_inst_pref_size 5
		.amdhsa_round_robin_scheduling 0
		.amdhsa_exception_fp_ieee_invalid_op 0
		.amdhsa_exception_fp_denorm_src 0
		.amdhsa_exception_fp_ieee_div_zero 0
		.amdhsa_exception_fp_ieee_overflow 0
		.amdhsa_exception_fp_ieee_underflow 0
		.amdhsa_exception_fp_ieee_inexact 0
		.amdhsa_exception_int_div_zero 0
	.end_amdhsa_kernel
	.section	.text._Z6kernelI26subtract_left_partial_tileLj256ELj4ELb0EJPfPiS1_jEEvDpT3_,"axG",@progbits,_Z6kernelI26subtract_left_partial_tileLj256ELj4ELb0EJPfPiS1_jEEvDpT3_,comdat
.Lfunc_end128:
	.size	_Z6kernelI26subtract_left_partial_tileLj256ELj4ELb0EJPfPiS1_jEEvDpT3_, .Lfunc_end128-_Z6kernelI26subtract_left_partial_tileLj256ELj4ELb0EJPfPiS1_jEEvDpT3_
                                        ; -- End function
	.set _Z6kernelI26subtract_left_partial_tileLj256ELj4ELb0EJPfPiS1_jEEvDpT3_.num_vgpr, 14
	.set _Z6kernelI26subtract_left_partial_tileLj256ELj4ELb0EJPfPiS1_jEEvDpT3_.num_agpr, 0
	.set _Z6kernelI26subtract_left_partial_tileLj256ELj4ELb0EJPfPiS1_jEEvDpT3_.numbered_sgpr, 12
	.set _Z6kernelI26subtract_left_partial_tileLj256ELj4ELb0EJPfPiS1_jEEvDpT3_.num_named_barrier, 0
	.set _Z6kernelI26subtract_left_partial_tileLj256ELj4ELb0EJPfPiS1_jEEvDpT3_.private_seg_size, 0
	.set _Z6kernelI26subtract_left_partial_tileLj256ELj4ELb0EJPfPiS1_jEEvDpT3_.uses_vcc, 1
	.set _Z6kernelI26subtract_left_partial_tileLj256ELj4ELb0EJPfPiS1_jEEvDpT3_.uses_flat_scratch, 0
	.set _Z6kernelI26subtract_left_partial_tileLj256ELj4ELb0EJPfPiS1_jEEvDpT3_.has_dyn_sized_stack, 0
	.set _Z6kernelI26subtract_left_partial_tileLj256ELj4ELb0EJPfPiS1_jEEvDpT3_.has_recursion, 0
	.set _Z6kernelI26subtract_left_partial_tileLj256ELj4ELb0EJPfPiS1_jEEvDpT3_.has_indirect_call, 0
	.section	.AMDGPU.csdata,"",@progbits
; Kernel info:
; codeLenInByte = 580
; TotalNumSgprs: 14
; NumVgprs: 14
; ScratchSize: 0
; MemoryBound: 0
; FloatMode: 240
; IeeeMode: 1
; LDSByteSize: 2048 bytes/workgroup (compile time only)
; SGPRBlocks: 0
; VGPRBlocks: 1
; NumSGPRsForWavesPerEU: 14
; NumVGPRsForWavesPerEU: 14
; Occupancy: 16
; WaveLimiterHint : 1
; COMPUTE_PGM_RSRC2:SCRATCH_EN: 0
; COMPUTE_PGM_RSRC2:USER_SGPR: 2
; COMPUTE_PGM_RSRC2:TRAP_HANDLER: 0
; COMPUTE_PGM_RSRC2:TGID_X_EN: 1
; COMPUTE_PGM_RSRC2:TGID_Y_EN: 0
; COMPUTE_PGM_RSRC2:TGID_Z_EN: 0
; COMPUTE_PGM_RSRC2:TIDIG_COMP_CNT: 0
	.section	.text._Z6kernelI26subtract_left_partial_tileLj256ELj8ELb0EJPfPiS1_jEEvDpT3_,"axG",@progbits,_Z6kernelI26subtract_left_partial_tileLj256ELj8ELb0EJPfPiS1_jEEvDpT3_,comdat
	.protected	_Z6kernelI26subtract_left_partial_tileLj256ELj8ELb0EJPfPiS1_jEEvDpT3_ ; -- Begin function _Z6kernelI26subtract_left_partial_tileLj256ELj8ELb0EJPfPiS1_jEEvDpT3_
	.globl	_Z6kernelI26subtract_left_partial_tileLj256ELj8ELb0EJPfPiS1_jEEvDpT3_
	.p2align	8
	.type	_Z6kernelI26subtract_left_partial_tileLj256ELj8ELb0EJPfPiS1_jEEvDpT3_,@function
_Z6kernelI26subtract_left_partial_tileLj256ELj8ELb0EJPfPiS1_jEEvDpT3_: ; @_Z6kernelI26subtract_left_partial_tileLj256ELj8ELb0EJPfPiS1_jEEvDpT3_
; %bb.0:
	s_load_b128 s[8:11], s[0:1], 0x0
	s_lshl_b32 s12, ttmp9, 11
	s_mov_b32 s13, 0
	v_lshlrev_b32_e32 v9, 2, v0
	s_lshl_b64 s[4:5], s[12:13], 2
	s_load_b96 s[0:2], s[0:1], 0x10
	s_mov_b32 s12, ttmp9
	v_cmp_ne_u32_e32 vcc_lo, 0, v0
	v_add_nc_u32_e32 v18, -4, v9
	s_wait_kmcnt 0x0
	s_add_nc_u64 s[6:7], s[8:9], s[4:5]
	s_lshl_b64 s[8:9], s[12:13], 2
	s_clause 0x7
	global_load_b32 v1, v9, s[6:7]
	global_load_b32 v2, v9, s[6:7] offset:1024
	global_load_b32 v3, v9, s[6:7] offset:2048
	;; [unrolled: 1-line block ×7, first 2 shown]
	s_add_nc_u64 s[8:9], s[10:11], s[8:9]
	s_cvt_f32_u32 s3, s2
	s_sub_co_i32 s6, 0, s2
	s_delay_alu instid0(SALU_CYCLE_2) | instskip(NEXT) | instid1(TRANS32_DEP_1)
	v_rcp_iflag_f32_e32 v10, s3
	v_readfirstlane_b32 s3, v10
	v_lshlrev_b32_e32 v10, 3, v0
	s_mul_f32 s3, s3, 0x4f7ffffe
	s_delay_alu instid0(VALU_DEP_1)
	v_or_b32_e32 v11, 7, v10
	v_or_b32_e32 v12, 6, v10
	;; [unrolled: 1-line block ×3, first 2 shown]
	s_wait_alu 0xfffe
	s_cvt_u32_f32 s3, s3
	v_or_b32_e32 v14, 4, v10
	v_or_b32_e32 v15, 3, v10
	;; [unrolled: 1-line block ×3, first 2 shown]
	s_wait_alu 0xfffe
	s_mul_i32 s6, s6, s3
	v_or_b32_e32 v17, 1, v10
	s_mul_hi_u32 s7, s3, s6
	s_mov_b32 s6, s0
	s_add_co_i32 s3, s3, s7
	s_wait_alu 0xfffe
	s_lshr_b32 s0, s3, 21
	s_load_b32 s3, s[8:9], 0x0
	s_mul_i32 s7, s0, s2
	s_add_co_i32 s8, s0, 1
	s_sub_co_i32 s7, 0x800, s7
	s_delay_alu instid0(SALU_CYCLE_1)
	s_sub_co_i32 s9, s7, s2
	s_cmp_ge_u32 s7, s2
	s_cselect_b32 s0, s8, s0
	s_cselect_b32 s7, s9, s7
	s_add_co_i32 s8, s0, 1
	s_cmp_ge_u32 s7, s2
	s_mov_b32 s7, s1
	s_cselect_b32 s0, s8, s0
	s_delay_alu instid0(SALU_CYCLE_1)
	s_add_co_i32 s1, s0, 1
	s_branch .LBB129_2
.LBB129_1:                              ;   in Loop: Header=BB129_2 Depth=1
	s_wait_alu 0xfffe
	s_or_b32 exec_lo, exec_lo, s0
	v_dual_sub_f32 v20, v8, v7 :: v_dual_sub_f32 v21, v7, v6
	v_cmp_gt_u32_e64 s0, s3, v11
	v_dual_sub_f32 v22, v6, v5 :: v_dual_sub_f32 v23, v4, v3
	v_dual_sub_f32 v24, v5, v4 :: v_dual_sub_f32 v25, v2, v1
	s_wait_alu 0xf1ff
	s_delay_alu instid0(VALU_DEP_3)
	v_cndmask_b32_e64 v20, v8, v20, s0
	v_cmp_gt_u32_e64 s0, s3, v12
	v_dual_sub_f32 v26, v3, v2 :: v_dual_add_f32 v1, v1, v19
	s_add_co_i32 s2, s2, -1
	v_add_f32_e32 v8, v8, v20
	v_cndmask_b32_e64 v21, v7, v21, s0
	v_cmp_gt_u32_e64 s0, s3, v13
	s_wait_loadcnt 0x0
	s_barrier_signal -1
	s_barrier_wait -1
	global_inv scope:SCOPE_SE
	s_wait_alu 0xf1ff
	v_cndmask_b32_e64 v22, v6, v22, s0
	v_cmp_gt_u32_e64 s0, s3, v15
	s_delay_alu instid0(VALU_DEP_2) | instskip(SKIP_1) | instid1(VALU_DEP_2)
	v_dual_add_f32 v7, v7, v21 :: v_dual_add_f32 v6, v6, v22
	s_wait_alu 0xf1ff
	v_cndmask_b32_e64 v23, v4, v23, s0
	v_cmp_gt_u32_e64 s0, s3, v17
	s_wait_alu 0xf1ff
	s_delay_alu instid0(VALU_DEP_1) | instskip(SKIP_2) | instid1(VALU_DEP_1)
	v_cndmask_b32_e64 v25, v2, v25, s0
	v_cmp_gt_u32_e64 s0, s3, v16
	s_wait_alu 0xf1ff
	v_cndmask_b32_e64 v26, v3, v26, s0
	v_cmp_gt_u32_e64 s0, s3, v14
	s_delay_alu instid0(VALU_DEP_2) | instskip(SKIP_1) | instid1(VALU_DEP_2)
	v_dual_add_f32 v2, v2, v25 :: v_dual_add_f32 v3, v3, v26
	s_wait_alu 0xf1ff
	v_cndmask_b32_e64 v24, v5, v24, s0
	v_add_f32_e32 v4, v4, v23
	s_add_co_i32 s0, s1, s3
	s_wait_alu 0xfffe
	s_and_b32 s3, s0, 0x7ff
	v_add_f32_e32 v5, v5, v24
	s_cmp_lg_u32 s2, 0
	s_cbranch_scc0 .LBB129_4
.LBB129_2:                              ; =>This Inner Loop Header: Depth=1
	s_wait_kmcnt 0x0
	s_wait_alu 0xfffe
	v_cmp_gt_u32_e64 s0, s3, v10
	s_wait_loadcnt 0x7
	v_mov_b32_e32 v19, v1
	s_wait_loadcnt 0x0
	ds_store_b32 v9, v8
	s_wait_dscnt 0x0
	s_barrier_signal -1
	s_and_b32 s8, vcc_lo, s0
	s_barrier_wait -1
	global_inv scope:SCOPE_SE
	s_and_saveexec_b32 s0, s8
	s_cbranch_execz .LBB129_1
; %bb.3:                                ;   in Loop: Header=BB129_2 Depth=1
	ds_load_b32 v19, v18
	s_wait_dscnt 0x0
	v_sub_f32_e32 v19, v1, v19
	s_branch .LBB129_1
.LBB129_4:
	v_lshlrev_b32_e32 v0, 2, v0
	s_add_nc_u64 s[0:1], s[6:7], s[4:5]
	s_clause 0x7
	global_store_b32 v0, v1, s[0:1]
	global_store_b32 v0, v2, s[0:1] offset:1024
	global_store_b32 v0, v3, s[0:1] offset:2048
	;; [unrolled: 1-line block ×7, first 2 shown]
	s_endpgm
	.section	.rodata,"a",@progbits
	.p2align	6, 0x0
	.amdhsa_kernel _Z6kernelI26subtract_left_partial_tileLj256ELj8ELb0EJPfPiS1_jEEvDpT3_
		.amdhsa_group_segment_fixed_size 2048
		.amdhsa_private_segment_fixed_size 0
		.amdhsa_kernarg_size 28
		.amdhsa_user_sgpr_count 2
		.amdhsa_user_sgpr_dispatch_ptr 0
		.amdhsa_user_sgpr_queue_ptr 0
		.amdhsa_user_sgpr_kernarg_segment_ptr 1
		.amdhsa_user_sgpr_dispatch_id 0
		.amdhsa_user_sgpr_private_segment_size 0
		.amdhsa_wavefront_size32 1
		.amdhsa_uses_dynamic_stack 0
		.amdhsa_enable_private_segment 0
		.amdhsa_system_sgpr_workgroup_id_x 1
		.amdhsa_system_sgpr_workgroup_id_y 0
		.amdhsa_system_sgpr_workgroup_id_z 0
		.amdhsa_system_sgpr_workgroup_info 0
		.amdhsa_system_vgpr_workitem_id 0
		.amdhsa_next_free_vgpr 27
		.amdhsa_next_free_sgpr 14
		.amdhsa_reserve_vcc 1
		.amdhsa_float_round_mode_32 0
		.amdhsa_float_round_mode_16_64 0
		.amdhsa_float_denorm_mode_32 3
		.amdhsa_float_denorm_mode_16_64 3
		.amdhsa_fp16_overflow 0
		.amdhsa_workgroup_processor_mode 1
		.amdhsa_memory_ordered 1
		.amdhsa_forward_progress 1
		.amdhsa_inst_pref_size 7
		.amdhsa_round_robin_scheduling 0
		.amdhsa_exception_fp_ieee_invalid_op 0
		.amdhsa_exception_fp_denorm_src 0
		.amdhsa_exception_fp_ieee_div_zero 0
		.amdhsa_exception_fp_ieee_overflow 0
		.amdhsa_exception_fp_ieee_underflow 0
		.amdhsa_exception_fp_ieee_inexact 0
		.amdhsa_exception_int_div_zero 0
	.end_amdhsa_kernel
	.section	.text._Z6kernelI26subtract_left_partial_tileLj256ELj8ELb0EJPfPiS1_jEEvDpT3_,"axG",@progbits,_Z6kernelI26subtract_left_partial_tileLj256ELj8ELb0EJPfPiS1_jEEvDpT3_,comdat
.Lfunc_end129:
	.size	_Z6kernelI26subtract_left_partial_tileLj256ELj8ELb0EJPfPiS1_jEEvDpT3_, .Lfunc_end129-_Z6kernelI26subtract_left_partial_tileLj256ELj8ELb0EJPfPiS1_jEEvDpT3_
                                        ; -- End function
	.set _Z6kernelI26subtract_left_partial_tileLj256ELj8ELb0EJPfPiS1_jEEvDpT3_.num_vgpr, 27
	.set _Z6kernelI26subtract_left_partial_tileLj256ELj8ELb0EJPfPiS1_jEEvDpT3_.num_agpr, 0
	.set _Z6kernelI26subtract_left_partial_tileLj256ELj8ELb0EJPfPiS1_jEEvDpT3_.numbered_sgpr, 14
	.set _Z6kernelI26subtract_left_partial_tileLj256ELj8ELb0EJPfPiS1_jEEvDpT3_.num_named_barrier, 0
	.set _Z6kernelI26subtract_left_partial_tileLj256ELj8ELb0EJPfPiS1_jEEvDpT3_.private_seg_size, 0
	.set _Z6kernelI26subtract_left_partial_tileLj256ELj8ELb0EJPfPiS1_jEEvDpT3_.uses_vcc, 1
	.set _Z6kernelI26subtract_left_partial_tileLj256ELj8ELb0EJPfPiS1_jEEvDpT3_.uses_flat_scratch, 0
	.set _Z6kernelI26subtract_left_partial_tileLj256ELj8ELb0EJPfPiS1_jEEvDpT3_.has_dyn_sized_stack, 0
	.set _Z6kernelI26subtract_left_partial_tileLj256ELj8ELb0EJPfPiS1_jEEvDpT3_.has_recursion, 0
	.set _Z6kernelI26subtract_left_partial_tileLj256ELj8ELb0EJPfPiS1_jEEvDpT3_.has_indirect_call, 0
	.section	.AMDGPU.csdata,"",@progbits
; Kernel info:
; codeLenInByte = 808
; TotalNumSgprs: 16
; NumVgprs: 27
; ScratchSize: 0
; MemoryBound: 0
; FloatMode: 240
; IeeeMode: 1
; LDSByteSize: 2048 bytes/workgroup (compile time only)
; SGPRBlocks: 0
; VGPRBlocks: 3
; NumSGPRsForWavesPerEU: 16
; NumVGPRsForWavesPerEU: 27
; Occupancy: 16
; WaveLimiterHint : 1
; COMPUTE_PGM_RSRC2:SCRATCH_EN: 0
; COMPUTE_PGM_RSRC2:USER_SGPR: 2
; COMPUTE_PGM_RSRC2:TRAP_HANDLER: 0
; COMPUTE_PGM_RSRC2:TGID_X_EN: 1
; COMPUTE_PGM_RSRC2:TGID_Y_EN: 0
; COMPUTE_PGM_RSRC2:TGID_Z_EN: 0
; COMPUTE_PGM_RSRC2:TIDIG_COMP_CNT: 0
	.section	.text._Z6kernelI26subtract_left_partial_tileLj256ELj16ELb0EJPfPiS1_jEEvDpT3_,"axG",@progbits,_Z6kernelI26subtract_left_partial_tileLj256ELj16ELb0EJPfPiS1_jEEvDpT3_,comdat
	.protected	_Z6kernelI26subtract_left_partial_tileLj256ELj16ELb0EJPfPiS1_jEEvDpT3_ ; -- Begin function _Z6kernelI26subtract_left_partial_tileLj256ELj16ELb0EJPfPiS1_jEEvDpT3_
	.globl	_Z6kernelI26subtract_left_partial_tileLj256ELj16ELb0EJPfPiS1_jEEvDpT3_
	.p2align	8
	.type	_Z6kernelI26subtract_left_partial_tileLj256ELj16ELb0EJPfPiS1_jEEvDpT3_,@function
_Z6kernelI26subtract_left_partial_tileLj256ELj16ELb0EJPfPiS1_jEEvDpT3_: ; @_Z6kernelI26subtract_left_partial_tileLj256ELj16ELb0EJPfPiS1_jEEvDpT3_
; %bb.0:
	s_load_b128 s[4:7], s[0:1], 0x0
	s_lshl_b32 s10, ttmp9, 12
	s_mov_b32 s11, 0
	v_lshlrev_b32_e32 v17, 2, v0
	s_lshl_b64 s[8:9], s[10:11], 2
	s_load_b96 s[0:2], s[0:1], 0x10
	s_mov_b32 s10, ttmp9
	v_cmp_ne_u32_e32 vcc_lo, 0, v0
	s_lshl_b64 s[10:11], s[10:11], 2
	v_add_nc_u32_e32 v34, -4, v17
	s_wait_kmcnt 0x0
	s_add_nc_u64 s[4:5], s[4:5], s[8:9]
	s_add_nc_u64 s[6:7], s[6:7], s[10:11]
	s_clause 0xf
	global_load_b32 v16, v17, s[4:5]
	global_load_b32 v15, v17, s[4:5] offset:1024
	global_load_b32 v14, v17, s[4:5] offset:2048
	;; [unrolled: 1-line block ×15, first 2 shown]
	s_cvt_f32_u32 s3, s2
	s_sub_co_i32 s4, 0, s2
	s_delay_alu instid0(SALU_CYCLE_2) | instskip(NEXT) | instid1(TRANS32_DEP_1)
	v_rcp_iflag_f32_e32 v18, s3
	v_readfirstlane_b32 s3, v18
	v_lshlrev_b32_e32 v18, 4, v0
	s_mul_f32 s3, s3, 0x4f7ffffe
	s_delay_alu instid0(VALU_DEP_1)
	v_or_b32_e32 v19, 15, v18
	v_or_b32_e32 v20, 14, v18
	;; [unrolled: 1-line block ×3, first 2 shown]
	s_wait_alu 0xfffe
	s_cvt_u32_f32 s3, s3
	v_or_b32_e32 v22, 12, v18
	v_or_b32_e32 v23, 11, v18
	;; [unrolled: 1-line block ×3, first 2 shown]
	s_wait_alu 0xfffe
	s_mul_i32 s4, s4, s3
	v_or_b32_e32 v25, 9, v18
	s_mul_hi_u32 s5, s3, s4
	s_mov_b32 s4, s0
	s_add_co_i32 s3, s3, s5
	v_or_b32_e32 v26, 8, v18
	s_wait_alu 0xfffe
	s_lshr_b32 s0, s3, 20
	s_load_b32 s3, s[6:7], 0x0
	s_mul_i32 s5, s0, s2
	s_add_co_i32 s6, s0, 1
	s_sub_co_i32 s5, 0x1000, s5
	v_or_b32_e32 v27, 7, v18
	s_sub_co_i32 s7, s5, s2
	s_cmp_ge_u32 s5, s2
	v_or_b32_e32 v28, 6, v18
	s_cselect_b32 s0, s6, s0
	s_cselect_b32 s5, s7, s5
	s_add_co_i32 s6, s0, 1
	s_cmp_ge_u32 s5, s2
	v_or_b32_e32 v29, 5, v18
	v_or_b32_e32 v30, 4, v18
	;; [unrolled: 1-line block ×5, first 2 shown]
	s_cselect_b32 s0, s6, s0
	s_mov_b32 s5, s1
	s_add_co_i32 s1, s0, 1
	s_branch .LBB130_2
.LBB130_1:                              ;   in Loop: Header=BB130_2 Depth=1
	s_wait_alu 0xfffe
	s_or_b32 exec_lo, exec_lo, s0
	v_dual_sub_f32 v36, v1, v2 :: v_dual_sub_f32 v37, v2, v3
	v_cmp_gt_u32_e64 s0, s3, v19
	v_dual_sub_f32 v38, v3, v4 :: v_dual_sub_f32 v39, v4, v5
	v_dual_sub_f32 v40, v5, v6 :: v_dual_sub_f32 v41, v6, v7
	s_wait_alu 0xf1ff
	s_delay_alu instid0(VALU_DEP_3) | instskip(SKIP_4) | instid1(VALU_DEP_3)
	v_cndmask_b32_e64 v36, v1, v36, s0
	v_cmp_gt_u32_e64 s0, s3, v20
	v_dual_sub_f32 v42, v7, v8 :: v_dual_sub_f32 v43, v8, v9
	v_dual_sub_f32 v44, v9, v10 :: v_dual_sub_f32 v45, v10, v11
	s_wait_alu 0xf1ff
	v_cndmask_b32_e64 v37, v2, v37, s0
	v_cmp_gt_u32_e64 s0, s3, v21
	v_dual_sub_f32 v46, v11, v12 :: v_dual_sub_f32 v47, v13, v14
	v_dual_sub_f32 v48, v12, v13 :: v_dual_sub_f32 v49, v15, v16
	s_wait_alu 0xf1ff
	s_delay_alu instid0(VALU_DEP_3)
	v_cndmask_b32_e64 v38, v3, v38, s0
	v_cmp_gt_u32_e64 s0, s3, v22
	v_add_f32_e32 v2, v2, v37
	s_add_co_i32 s2, s2, -1
	s_wait_loadcnt 0x0
	s_barrier_signal -1
	v_cndmask_b32_e64 v39, v4, v39, s0
	v_cmp_gt_u32_e64 s0, s3, v23
	v_add_f32_e32 v1, v1, v36
	s_barrier_wait -1
	global_inv scope:SCOPE_SE
	v_add_f32_e32 v4, v4, v39
	s_wait_alu 0xf1ff
	v_cndmask_b32_e64 v40, v5, v40, s0
	v_cmp_gt_u32_e64 s0, s3, v24
	v_add_f32_e32 v3, v3, v38
	s_delay_alu instid0(VALU_DEP_3) | instskip(SKIP_1) | instid1(VALU_DEP_3)
	v_add_f32_e32 v5, v5, v40
	s_wait_alu 0xf1ff
	v_cndmask_b32_e64 v41, v6, v41, s0
	v_cmp_gt_u32_e64 s0, s3, v25
	s_delay_alu instid0(VALU_DEP_2) | instskip(SKIP_1) | instid1(VALU_DEP_2)
	v_add_f32_e32 v6, v6, v41
	s_wait_alu 0xf1ff
	v_cndmask_b32_e64 v42, v7, v42, s0
	v_cmp_gt_u32_e64 s0, s3, v26
	s_delay_alu instid0(VALU_DEP_2) | instskip(SKIP_1) | instid1(VALU_DEP_2)
	;; [unrolled: 5-line block ×6, first 2 shown]
	v_dual_add_f32 v16, v16, v35 :: v_dual_add_f32 v11, v11, v46
	s_wait_alu 0xf1ff
	v_cndmask_b32_e64 v47, v13, v47, s0
	v_cmp_gt_u32_e64 s0, s3, v33
	s_delay_alu instid0(VALU_DEP_2) | instskip(SKIP_1) | instid1(VALU_DEP_2)
	v_add_f32_e32 v13, v13, v47
	s_wait_alu 0xf1ff
	v_cndmask_b32_e64 v49, v15, v49, s0
	v_sub_f32_e32 v50, v14, v15
	v_cmp_gt_u32_e64 s0, s3, v32
	s_delay_alu instid0(VALU_DEP_3) | instskip(SKIP_1) | instid1(VALU_DEP_2)
	v_add_f32_e32 v15, v15, v49
	s_wait_alu 0xf1ff
	v_cndmask_b32_e64 v50, v14, v50, s0
	v_cmp_gt_u32_e64 s0, s3, v30
	s_delay_alu instid0(VALU_DEP_2) | instskip(SKIP_1) | instid1(VALU_DEP_2)
	v_add_f32_e32 v14, v14, v50
	s_wait_alu 0xf1ff
	v_cndmask_b32_e64 v48, v12, v48, s0
	s_add_co_i32 s0, s1, s3
	s_wait_alu 0xfffe
	s_and_b32 s3, s0, 0xfff
	s_cmp_lg_u32 s2, 0
	v_add_f32_e32 v12, v12, v48
	s_cbranch_scc0 .LBB130_4
.LBB130_2:                              ; =>This Inner Loop Header: Depth=1
	s_wait_kmcnt 0x0
	s_wait_alu 0xfffe
	v_cmp_gt_u32_e64 s0, s3, v18
	s_wait_loadcnt 0xf
	v_mov_b32_e32 v35, v16
	s_wait_loadcnt 0x0
	ds_store_b32 v17, v1
	s_wait_dscnt 0x0
	s_barrier_signal -1
	s_and_b32 s6, vcc_lo, s0
	s_barrier_wait -1
	global_inv scope:SCOPE_SE
	s_and_saveexec_b32 s0, s6
	s_cbranch_execz .LBB130_1
; %bb.3:                                ;   in Loop: Header=BB130_2 Depth=1
	ds_load_b32 v35, v34
	s_wait_dscnt 0x0
	v_sub_f32_e32 v35, v16, v35
	s_branch .LBB130_1
.LBB130_4:
	v_lshlrev_b32_e32 v0, 2, v0
	s_add_nc_u64 s[0:1], s[4:5], s[8:9]
	s_clause 0xf
	global_store_b32 v0, v16, s[0:1]
	global_store_b32 v0, v15, s[0:1] offset:1024
	global_store_b32 v0, v14, s[0:1] offset:2048
	;; [unrolled: 1-line block ×15, first 2 shown]
	s_endpgm
	.section	.rodata,"a",@progbits
	.p2align	6, 0x0
	.amdhsa_kernel _Z6kernelI26subtract_left_partial_tileLj256ELj16ELb0EJPfPiS1_jEEvDpT3_
		.amdhsa_group_segment_fixed_size 2048
		.amdhsa_private_segment_fixed_size 0
		.amdhsa_kernarg_size 28
		.amdhsa_user_sgpr_count 2
		.amdhsa_user_sgpr_dispatch_ptr 0
		.amdhsa_user_sgpr_queue_ptr 0
		.amdhsa_user_sgpr_kernarg_segment_ptr 1
		.amdhsa_user_sgpr_dispatch_id 0
		.amdhsa_user_sgpr_private_segment_size 0
		.amdhsa_wavefront_size32 1
		.amdhsa_uses_dynamic_stack 0
		.amdhsa_enable_private_segment 0
		.amdhsa_system_sgpr_workgroup_id_x 1
		.amdhsa_system_sgpr_workgroup_id_y 0
		.amdhsa_system_sgpr_workgroup_id_z 0
		.amdhsa_system_sgpr_workgroup_info 0
		.amdhsa_system_vgpr_workitem_id 0
		.amdhsa_next_free_vgpr 51
		.amdhsa_next_free_sgpr 12
		.amdhsa_reserve_vcc 1
		.amdhsa_float_round_mode_32 0
		.amdhsa_float_round_mode_16_64 0
		.amdhsa_float_denorm_mode_32 3
		.amdhsa_float_denorm_mode_16_64 3
		.amdhsa_fp16_overflow 0
		.amdhsa_workgroup_processor_mode 1
		.amdhsa_memory_ordered 1
		.amdhsa_forward_progress 1
		.amdhsa_inst_pref_size 10
		.amdhsa_round_robin_scheduling 0
		.amdhsa_exception_fp_ieee_invalid_op 0
		.amdhsa_exception_fp_denorm_src 0
		.amdhsa_exception_fp_ieee_div_zero 0
		.amdhsa_exception_fp_ieee_overflow 0
		.amdhsa_exception_fp_ieee_underflow 0
		.amdhsa_exception_fp_ieee_inexact 0
		.amdhsa_exception_int_div_zero 0
	.end_amdhsa_kernel
	.section	.text._Z6kernelI26subtract_left_partial_tileLj256ELj16ELb0EJPfPiS1_jEEvDpT3_,"axG",@progbits,_Z6kernelI26subtract_left_partial_tileLj256ELj16ELb0EJPfPiS1_jEEvDpT3_,comdat
.Lfunc_end130:
	.size	_Z6kernelI26subtract_left_partial_tileLj256ELj16ELb0EJPfPiS1_jEEvDpT3_, .Lfunc_end130-_Z6kernelI26subtract_left_partial_tileLj256ELj16ELb0EJPfPiS1_jEEvDpT3_
                                        ; -- End function
	.set _Z6kernelI26subtract_left_partial_tileLj256ELj16ELb0EJPfPiS1_jEEvDpT3_.num_vgpr, 51
	.set _Z6kernelI26subtract_left_partial_tileLj256ELj16ELb0EJPfPiS1_jEEvDpT3_.num_agpr, 0
	.set _Z6kernelI26subtract_left_partial_tileLj256ELj16ELb0EJPfPiS1_jEEvDpT3_.numbered_sgpr, 12
	.set _Z6kernelI26subtract_left_partial_tileLj256ELj16ELb0EJPfPiS1_jEEvDpT3_.num_named_barrier, 0
	.set _Z6kernelI26subtract_left_partial_tileLj256ELj16ELb0EJPfPiS1_jEEvDpT3_.private_seg_size, 0
	.set _Z6kernelI26subtract_left_partial_tileLj256ELj16ELb0EJPfPiS1_jEEvDpT3_.uses_vcc, 1
	.set _Z6kernelI26subtract_left_partial_tileLj256ELj16ELb0EJPfPiS1_jEEvDpT3_.uses_flat_scratch, 0
	.set _Z6kernelI26subtract_left_partial_tileLj256ELj16ELb0EJPfPiS1_jEEvDpT3_.has_dyn_sized_stack, 0
	.set _Z6kernelI26subtract_left_partial_tileLj256ELj16ELb0EJPfPiS1_jEEvDpT3_.has_recursion, 0
	.set _Z6kernelI26subtract_left_partial_tileLj256ELj16ELb0EJPfPiS1_jEEvDpT3_.has_indirect_call, 0
	.section	.AMDGPU.csdata,"",@progbits
; Kernel info:
; codeLenInByte = 1280
; TotalNumSgprs: 14
; NumVgprs: 51
; ScratchSize: 0
; MemoryBound: 0
; FloatMode: 240
; IeeeMode: 1
; LDSByteSize: 2048 bytes/workgroup (compile time only)
; SGPRBlocks: 0
; VGPRBlocks: 6
; NumSGPRsForWavesPerEU: 14
; NumVGPRsForWavesPerEU: 51
; Occupancy: 16
; WaveLimiterHint : 1
; COMPUTE_PGM_RSRC2:SCRATCH_EN: 0
; COMPUTE_PGM_RSRC2:USER_SGPR: 2
; COMPUTE_PGM_RSRC2:TRAP_HANDLER: 0
; COMPUTE_PGM_RSRC2:TGID_X_EN: 1
; COMPUTE_PGM_RSRC2:TGID_Y_EN: 0
; COMPUTE_PGM_RSRC2:TGID_Z_EN: 0
; COMPUTE_PGM_RSRC2:TIDIG_COMP_CNT: 0
	.section	.text._Z6kernelI26subtract_left_partial_tileLj256ELj32ELb0EJPfPiS1_jEEvDpT3_,"axG",@progbits,_Z6kernelI26subtract_left_partial_tileLj256ELj32ELb0EJPfPiS1_jEEvDpT3_,comdat
	.protected	_Z6kernelI26subtract_left_partial_tileLj256ELj32ELb0EJPfPiS1_jEEvDpT3_ ; -- Begin function _Z6kernelI26subtract_left_partial_tileLj256ELj32ELb0EJPfPiS1_jEEvDpT3_
	.globl	_Z6kernelI26subtract_left_partial_tileLj256ELj32ELb0EJPfPiS1_jEEvDpT3_
	.p2align	8
	.type	_Z6kernelI26subtract_left_partial_tileLj256ELj32ELb0EJPfPiS1_jEEvDpT3_,@function
_Z6kernelI26subtract_left_partial_tileLj256ELj32ELb0EJPfPiS1_jEEvDpT3_: ; @_Z6kernelI26subtract_left_partial_tileLj256ELj32ELb0EJPfPiS1_jEEvDpT3_
; %bb.0:
	s_load_b128 s[4:7], s[0:1], 0x0
	s_lshl_b32 s10, ttmp9, 13
	s_mov_b32 s11, 0
	v_lshlrev_b32_e32 v33, 2, v0
	s_lshl_b64 s[8:9], s[10:11], 2
	s_load_b96 s[0:2], s[0:1], 0x10
	s_mov_b32 s10, ttmp9
	v_cmp_ne_u32_e32 vcc_lo, 0, v0
	s_lshl_b64 s[10:11], s[10:11], 2
	v_add_nc_u32_e32 v66, -4, v33
	s_wait_kmcnt 0x0
	s_add_nc_u64 s[4:5], s[4:5], s[8:9]
	s_add_nc_u64 s[6:7], s[6:7], s[10:11]
	s_clause 0x1f
	global_load_b32 v32, v33, s[4:5]
	global_load_b32 v31, v33, s[4:5] offset:1024
	global_load_b32 v30, v33, s[4:5] offset:2048
	;; [unrolled: 1-line block ×31, first 2 shown]
	s_cvt_f32_u32 s3, s2
	s_sub_co_i32 s4, 0, s2
	s_delay_alu instid0(SALU_CYCLE_2) | instskip(NEXT) | instid1(TRANS32_DEP_1)
	v_rcp_iflag_f32_e32 v34, s3
	v_readfirstlane_b32 s3, v34
	v_lshlrev_b32_e32 v34, 5, v0
	s_mul_f32 s3, s3, 0x4f7ffffe
	s_delay_alu instid0(VALU_DEP_1)
	v_or_b32_e32 v35, 31, v34
	v_or_b32_e32 v36, 30, v34
	;; [unrolled: 1-line block ×3, first 2 shown]
	s_wait_alu 0xfffe
	s_cvt_u32_f32 s3, s3
	v_or_b32_e32 v38, 28, v34
	v_or_b32_e32 v39, 27, v34
	;; [unrolled: 1-line block ×3, first 2 shown]
	s_wait_alu 0xfffe
	s_mul_i32 s4, s4, s3
	v_or_b32_e32 v41, 25, v34
	s_mul_hi_u32 s5, s3, s4
	s_mov_b32 s4, s0
	s_add_co_i32 s3, s3, s5
	v_or_b32_e32 v42, 24, v34
	s_wait_alu 0xfffe
	s_lshr_b32 s0, s3, 19
	s_load_b32 s3, s[6:7], 0x0
	s_mul_i32 s5, s0, s2
	s_add_co_i32 s6, s0, 1
	s_sub_co_i32 s5, 0x2000, s5
	v_or_b32_e32 v43, 23, v34
	s_sub_co_i32 s7, s5, s2
	s_cmp_ge_u32 s5, s2
	v_or_b32_e32 v44, 22, v34
	s_cselect_b32 s0, s6, s0
	s_cselect_b32 s5, s7, s5
	s_add_co_i32 s6, s0, 1
	s_cmp_ge_u32 s5, s2
	v_or_b32_e32 v45, 21, v34
	v_or_b32_e32 v46, 20, v34
	v_or_b32_e32 v47, 19, v34
	v_or_b32_e32 v48, 18, v34
	v_or_b32_e32 v49, 17, v34
	v_or_b32_e32 v50, 16, v34
	v_or_b32_e32 v51, 15, v34
	v_or_b32_e32 v52, 14, v34
	v_or_b32_e32 v53, 13, v34
	v_or_b32_e32 v54, 12, v34
	v_or_b32_e32 v55, 11, v34
	v_or_b32_e32 v56, 10, v34
	v_or_b32_e32 v57, 9, v34
	v_or_b32_e32 v58, 8, v34
	v_or_b32_e32 v59, 7, v34
	v_or_b32_e32 v60, 6, v34
	v_or_b32_e32 v61, 5, v34
	v_or_b32_e32 v62, 4, v34
	v_or_b32_e32 v63, 3, v34
	v_or_b32_e32 v64, 2, v34
	v_or_b32_e32 v65, 1, v34
	s_cselect_b32 s0, s6, s0
	s_mov_b32 s5, s1
	s_add_co_i32 s1, s0, 1
	s_branch .LBB131_2
.LBB131_1:                              ;   in Loop: Header=BB131_2 Depth=1
	s_wait_alu 0xfffe
	s_or_b32 exec_lo, exec_lo, s0
	v_dual_sub_f32 v68, v1, v2 :: v_dual_sub_f32 v69, v2, v3
	v_cmp_gt_u32_e64 s0, s3, v35
	v_dual_sub_f32 v70, v3, v4 :: v_dual_sub_f32 v71, v4, v5
	v_dual_sub_f32 v72, v5, v6 :: v_dual_sub_f32 v73, v6, v7
	s_wait_alu 0xf1ff
	s_delay_alu instid0(VALU_DEP_3) | instskip(SKIP_4) | instid1(VALU_DEP_3)
	v_cndmask_b32_e64 v68, v1, v68, s0
	v_cmp_gt_u32_e64 s0, s3, v36
	v_dual_sub_f32 v74, v7, v8 :: v_dual_sub_f32 v75, v8, v9
	v_dual_sub_f32 v76, v9, v10 :: v_dual_sub_f32 v77, v10, v11
	s_wait_alu 0xf1ff
	v_cndmask_b32_e64 v69, v2, v69, s0
	v_cmp_gt_u32_e64 s0, s3, v37
	v_dual_sub_f32 v78, v11, v12 :: v_dual_sub_f32 v79, v12, v13
	v_dual_sub_f32 v80, v13, v14 :: v_dual_sub_f32 v81, v14, v15
	s_wait_alu 0xf1ff
	s_delay_alu instid0(VALU_DEP_3) | instskip(SKIP_4) | instid1(VALU_DEP_3)
	v_cndmask_b32_e64 v70, v3, v70, s0
	v_cmp_gt_u32_e64 s0, s3, v38
	v_dual_sub_f32 v82, v15, v16 :: v_dual_sub_f32 v83, v16, v17
	v_dual_sub_f32 v84, v17, v18 :: v_dual_sub_f32 v85, v18, v19
	s_wait_alu 0xf1ff
	v_cndmask_b32_e64 v71, v4, v71, s0
	v_cmp_gt_u32_e64 s0, s3, v39
	v_dual_sub_f32 v86, v31, v32 :: v_dual_sub_f32 v87, v24, v25
	v_sub_f32_e32 v88, v30, v31
	s_delay_alu instid0(VALU_DEP_4)
	v_dual_add_f32 v4, v4, v71 :: v_dual_add_f32 v1, v1, v68
	s_wait_alu 0xf1ff
	v_cndmask_b32_e64 v72, v5, v72, s0
	v_cmp_gt_u32_e64 s0, s3, v40
	v_dual_add_f32 v2, v2, v69 :: v_dual_add_f32 v3, v3, v70
	s_add_co_i32 s2, s2, -1
	s_wait_loadcnt 0x0
	v_cndmask_b32_e64 v73, v6, v73, s0
	v_cmp_gt_u32_e64 s0, s3, v41
	s_barrier_signal -1
	s_barrier_wait -1
	global_inv scope:SCOPE_SE
	v_add_f32_e32 v6, v6, v73
	s_wait_alu 0xf1ff
	v_cndmask_b32_e64 v74, v7, v74, s0
	v_cmp_gt_u32_e64 s0, s3, v42
	v_add_f32_e32 v5, v5, v72
	v_sub_f32_e32 v89, v22, v23
	s_delay_alu instid0(VALU_DEP_4) | instskip(SKIP_3) | instid1(VALU_DEP_2)
	v_add_f32_e32 v7, v7, v74
	s_wait_alu 0xf1ff
	v_cndmask_b32_e64 v75, v8, v75, s0
	v_cmp_gt_u32_e64 s0, s3, v43
	v_add_f32_e32 v8, v8, v75
	s_wait_alu 0xf1ff
	s_delay_alu instid0(VALU_DEP_2) | instskip(SKIP_1) | instid1(VALU_DEP_2)
	v_cndmask_b32_e64 v76, v9, v76, s0
	v_cmp_gt_u32_e64 s0, s3, v44
	v_add_f32_e32 v9, v9, v76
	s_wait_alu 0xf1ff
	s_delay_alu instid0(VALU_DEP_2) | instskip(SKIP_1) | instid1(VALU_DEP_2)
	;; [unrolled: 5-line block ×9, first 2 shown]
	v_cndmask_b32_e64 v84, v17, v84, s0
	v_cmp_gt_u32_e64 s0, s3, v65
	v_add_f32_e32 v17, v17, v84
	s_wait_alu 0xf1ff
	s_delay_alu instid0(VALU_DEP_2) | instskip(SKIP_2) | instid1(VALU_DEP_3)
	v_cndmask_b32_e64 v86, v31, v86, s0
	v_cmp_gt_u32_e64 s0, s3, v64
	v_dual_add_f32 v32, v32, v67 :: v_dual_sub_f32 v67, v29, v30
	v_add_f32_e32 v31, v31, v86
	s_wait_alu 0xf1ff
	s_delay_alu instid0(VALU_DEP_3) | instskip(SKIP_1) | instid1(VALU_DEP_2)
	v_cndmask_b32_e64 v88, v30, v88, s0
	v_cmp_gt_u32_e64 s0, s3, v63
	v_add_f32_e32 v30, v30, v88
	s_wait_alu 0xf1ff
	s_delay_alu instid0(VALU_DEP_2) | instskip(SKIP_2) | instid1(VALU_DEP_3)
	v_cndmask_b32_e64 v67, v29, v67, s0
	v_sub_f32_e32 v86, v28, v29
	v_cmp_gt_u32_e64 s0, s3, v62
	v_dual_sub_f32 v88, v27, v28 :: v_dual_add_f32 v29, v29, v67
	v_sub_f32_e32 v67, v26, v27
	s_wait_alu 0xf1ff
	s_delay_alu instid0(VALU_DEP_3) | instskip(SKIP_2) | instid1(VALU_DEP_1)
	v_cndmask_b32_e64 v86, v28, v86, s0
	v_cmp_gt_u32_e64 s0, s3, v61
	s_wait_alu 0xf1ff
	v_cndmask_b32_e64 v88, v27, v88, s0
	v_cmp_gt_u32_e64 s0, s3, v60
	v_add_f32_e32 v28, v28, v86
	s_delay_alu instid0(VALU_DEP_3) | instskip(SKIP_1) | instid1(VALU_DEP_3)
	v_dual_sub_f32 v86, v25, v26 :: v_dual_add_f32 v27, v27, v88
	s_wait_alu 0xf1ff
	v_cndmask_b32_e64 v67, v26, v67, s0
	v_cmp_gt_u32_e64 s0, s3, v59
	v_sub_f32_e32 v88, v23, v24
	s_delay_alu instid0(VALU_DEP_3) | instskip(SKIP_1) | instid1(VALU_DEP_3)
	v_dual_add_f32 v26, v26, v67 :: v_dual_sub_f32 v67, v19, v20
	s_wait_alu 0xf1ff
	v_cndmask_b32_e64 v86, v25, v86, s0
	v_cmp_gt_u32_e64 s0, s3, v58
	s_delay_alu instid0(VALU_DEP_2) | instskip(SKIP_1) | instid1(VALU_DEP_2)
	v_add_f32_e32 v25, v25, v86
	s_wait_alu 0xf1ff
	v_cndmask_b32_e64 v87, v24, v87, s0
	v_cmp_gt_u32_e64 s0, s3, v57
	s_delay_alu instid0(VALU_DEP_2) | instskip(SKIP_1) | instid1(VALU_DEP_2)
	v_add_f32_e32 v24, v24, v87
	s_wait_alu 0xf1ff
	v_cndmask_b32_e64 v88, v23, v88, s0
	v_cmp_gt_u32_e64 s0, s3, v56
	v_dual_sub_f32 v86, v20, v21 :: v_dual_sub_f32 v87, v21, v22
	s_delay_alu instid0(VALU_DEP_3) | instskip(SKIP_1) | instid1(VALU_DEP_3)
	v_add_f32_e32 v23, v23, v88
	s_wait_alu 0xf1ff
	v_cndmask_b32_e64 v88, v22, v89, s0
	v_cmp_gt_u32_e64 s0, s3, v55
	s_wait_alu 0xf1ff
	s_delay_alu instid0(VALU_DEP_1) | instskip(SKIP_1) | instid1(VALU_DEP_2)
	v_cndmask_b32_e64 v87, v21, v87, s0
	v_cmp_gt_u32_e64 s0, s3, v54
	v_dual_add_f32 v22, v22, v88 :: v_dual_add_f32 v21, v21, v87
	s_wait_alu 0xf1ff
	s_delay_alu instid0(VALU_DEP_2) | instskip(SKIP_2) | instid1(VALU_DEP_1)
	v_cndmask_b32_e64 v86, v20, v86, s0
	v_cmp_gt_u32_e64 s0, s3, v53
	s_wait_alu 0xf1ff
	v_cndmask_b32_e64 v67, v19, v67, s0
	v_cmp_gt_u32_e64 s0, s3, v52
	s_delay_alu instid0(VALU_DEP_2) | instskip(SKIP_1) | instid1(VALU_DEP_2)
	v_dual_add_f32 v20, v20, v86 :: v_dual_add_f32 v19, v19, v67
	s_wait_alu 0xf1ff
	v_cndmask_b32_e64 v85, v18, v85, s0
	s_add_co_i32 s0, s1, s3
	s_wait_alu 0xfffe
	s_and_b32 s3, s0, 0x1fff
	s_cmp_lg_u32 s2, 0
	v_add_f32_e32 v18, v18, v85
	s_cbranch_scc0 .LBB131_4
.LBB131_2:                              ; =>This Inner Loop Header: Depth=1
	s_wait_kmcnt 0x0
	s_wait_alu 0xfffe
	v_cmp_gt_u32_e64 s0, s3, v34
	s_wait_loadcnt 0x1f
	v_mov_b32_e32 v67, v32
	s_wait_loadcnt 0x0
	ds_store_b32 v33, v1
	s_wait_dscnt 0x0
	s_barrier_signal -1
	s_and_b32 s6, vcc_lo, s0
	s_barrier_wait -1
	global_inv scope:SCOPE_SE
	s_and_saveexec_b32 s0, s6
	s_cbranch_execz .LBB131_1
; %bb.3:                                ;   in Loop: Header=BB131_2 Depth=1
	ds_load_b32 v67, v66
	s_wait_dscnt 0x0
	v_sub_f32_e32 v67, v32, v67
	s_branch .LBB131_1
.LBB131_4:
	v_lshlrev_b32_e32 v0, 2, v0
	s_add_nc_u64 s[0:1], s[4:5], s[8:9]
	s_clause 0x1f
	global_store_b32 v0, v32, s[0:1]
	global_store_b32 v0, v31, s[0:1] offset:1024
	global_store_b32 v0, v30, s[0:1] offset:2048
	;; [unrolled: 1-line block ×31, first 2 shown]
	s_endpgm
	.section	.rodata,"a",@progbits
	.p2align	6, 0x0
	.amdhsa_kernel _Z6kernelI26subtract_left_partial_tileLj256ELj32ELb0EJPfPiS1_jEEvDpT3_
		.amdhsa_group_segment_fixed_size 2048
		.amdhsa_private_segment_fixed_size 0
		.amdhsa_kernarg_size 28
		.amdhsa_user_sgpr_count 2
		.amdhsa_user_sgpr_dispatch_ptr 0
		.amdhsa_user_sgpr_queue_ptr 0
		.amdhsa_user_sgpr_kernarg_segment_ptr 1
		.amdhsa_user_sgpr_dispatch_id 0
		.amdhsa_user_sgpr_private_segment_size 0
		.amdhsa_wavefront_size32 1
		.amdhsa_uses_dynamic_stack 0
		.amdhsa_enable_private_segment 0
		.amdhsa_system_sgpr_workgroup_id_x 1
		.amdhsa_system_sgpr_workgroup_id_y 0
		.amdhsa_system_sgpr_workgroup_id_z 0
		.amdhsa_system_sgpr_workgroup_info 0
		.amdhsa_system_vgpr_workitem_id 0
		.amdhsa_next_free_vgpr 90
		.amdhsa_next_free_sgpr 12
		.amdhsa_reserve_vcc 1
		.amdhsa_float_round_mode_32 0
		.amdhsa_float_round_mode_16_64 0
		.amdhsa_float_denorm_mode_32 3
		.amdhsa_float_denorm_mode_16_64 3
		.amdhsa_fp16_overflow 0
		.amdhsa_workgroup_processor_mode 1
		.amdhsa_memory_ordered 1
		.amdhsa_forward_progress 1
		.amdhsa_inst_pref_size 18
		.amdhsa_round_robin_scheduling 0
		.amdhsa_exception_fp_ieee_invalid_op 0
		.amdhsa_exception_fp_denorm_src 0
		.amdhsa_exception_fp_ieee_div_zero 0
		.amdhsa_exception_fp_ieee_overflow 0
		.amdhsa_exception_fp_ieee_underflow 0
		.amdhsa_exception_fp_ieee_inexact 0
		.amdhsa_exception_int_div_zero 0
	.end_amdhsa_kernel
	.section	.text._Z6kernelI26subtract_left_partial_tileLj256ELj32ELb0EJPfPiS1_jEEvDpT3_,"axG",@progbits,_Z6kernelI26subtract_left_partial_tileLj256ELj32ELb0EJPfPiS1_jEEvDpT3_,comdat
.Lfunc_end131:
	.size	_Z6kernelI26subtract_left_partial_tileLj256ELj32ELb0EJPfPiS1_jEEvDpT3_, .Lfunc_end131-_Z6kernelI26subtract_left_partial_tileLj256ELj32ELb0EJPfPiS1_jEEvDpT3_
                                        ; -- End function
	.set _Z6kernelI26subtract_left_partial_tileLj256ELj32ELb0EJPfPiS1_jEEvDpT3_.num_vgpr, 90
	.set _Z6kernelI26subtract_left_partial_tileLj256ELj32ELb0EJPfPiS1_jEEvDpT3_.num_agpr, 0
	.set _Z6kernelI26subtract_left_partial_tileLj256ELj32ELb0EJPfPiS1_jEEvDpT3_.numbered_sgpr, 12
	.set _Z6kernelI26subtract_left_partial_tileLj256ELj32ELb0EJPfPiS1_jEEvDpT3_.num_named_barrier, 0
	.set _Z6kernelI26subtract_left_partial_tileLj256ELj32ELb0EJPfPiS1_jEEvDpT3_.private_seg_size, 0
	.set _Z6kernelI26subtract_left_partial_tileLj256ELj32ELb0EJPfPiS1_jEEvDpT3_.uses_vcc, 1
	.set _Z6kernelI26subtract_left_partial_tileLj256ELj32ELb0EJPfPiS1_jEEvDpT3_.uses_flat_scratch, 0
	.set _Z6kernelI26subtract_left_partial_tileLj256ELj32ELb0EJPfPiS1_jEEvDpT3_.has_dyn_sized_stack, 0
	.set _Z6kernelI26subtract_left_partial_tileLj256ELj32ELb0EJPfPiS1_jEEvDpT3_.has_recursion, 0
	.set _Z6kernelI26subtract_left_partial_tileLj256ELj32ELb0EJPfPiS1_jEEvDpT3_.has_indirect_call, 0
	.section	.AMDGPU.csdata,"",@progbits
; Kernel info:
; codeLenInByte = 2228
; TotalNumSgprs: 14
; NumVgprs: 90
; ScratchSize: 0
; MemoryBound: 0
; FloatMode: 240
; IeeeMode: 1
; LDSByteSize: 2048 bytes/workgroup (compile time only)
; SGPRBlocks: 0
; VGPRBlocks: 11
; NumSGPRsForWavesPerEU: 14
; NumVGPRsForWavesPerEU: 90
; Occupancy: 16
; WaveLimiterHint : 1
; COMPUTE_PGM_RSRC2:SCRATCH_EN: 0
; COMPUTE_PGM_RSRC2:USER_SGPR: 2
; COMPUTE_PGM_RSRC2:TRAP_HANDLER: 0
; COMPUTE_PGM_RSRC2:TGID_X_EN: 1
; COMPUTE_PGM_RSRC2:TGID_Y_EN: 0
; COMPUTE_PGM_RSRC2:TGID_Z_EN: 0
; COMPUTE_PGM_RSRC2:TIDIG_COMP_CNT: 0
	.section	.text._Z6kernelI26subtract_left_partial_tileLj256ELj1ELb0EJPaPiS1_jEEvDpT3_,"axG",@progbits,_Z6kernelI26subtract_left_partial_tileLj256ELj1ELb0EJPaPiS1_jEEvDpT3_,comdat
	.protected	_Z6kernelI26subtract_left_partial_tileLj256ELj1ELb0EJPaPiS1_jEEvDpT3_ ; -- Begin function _Z6kernelI26subtract_left_partial_tileLj256ELj1ELb0EJPaPiS1_jEEvDpT3_
	.globl	_Z6kernelI26subtract_left_partial_tileLj256ELj1ELb0EJPaPiS1_jEEvDpT3_
	.p2align	8
	.type	_Z6kernelI26subtract_left_partial_tileLj256ELj1ELb0EJPaPiS1_jEEvDpT3_,@function
_Z6kernelI26subtract_left_partial_tileLj256ELj1ELb0EJPaPiS1_jEEvDpT3_: ; @_Z6kernelI26subtract_left_partial_tileLj256ELj1ELb0EJPaPiS1_jEEvDpT3_
; %bb.0:
	s_load_b128 s[8:11], s[0:1], 0x0
	s_lshl_b32 s4, ttmp9, 8
	s_mov_b32 s5, 0
	s_load_b96 s[0:2], s[0:1], 0x10
	s_mov_b32 s6, ttmp9
	s_mov_b32 s7, s5
	v_cmp_ne_u32_e32 vcc_lo, 0, v0
	s_lshl_b64 s[6:7], s[6:7], 2
	s_wait_kmcnt 0x0
	s_add_nc_u64 s[8:9], s[8:9], s[4:5]
	s_add_nc_u64 s[6:7], s[10:11], s[6:7]
	global_load_u8 v1, v0, s[8:9]
	s_cvt_f32_u32 s3, s2
	s_sub_co_i32 s8, 0, s2
	s_delay_alu instid0(SALU_CYCLE_2) | instskip(NEXT) | instid1(TRANS32_DEP_1)
	v_rcp_iflag_f32_e32 v2, s3
	v_readfirstlane_b32 s3, v2
	v_add_nc_u32_e32 v2, -1, v0
	s_mul_f32 s3, s3, 0x4f7ffffe
	s_wait_alu 0xfffe
	s_delay_alu instid0(SALU_CYCLE_2) | instskip(SKIP_1) | instid1(SALU_CYCLE_2)
	s_cvt_u32_f32 s3, s3
	s_wait_alu 0xfffe
	s_mul_i32 s8, s8, s3
	s_delay_alu instid0(SALU_CYCLE_1) | instskip(NEXT) | instid1(SALU_CYCLE_1)
	s_mul_hi_u32 s8, s3, s8
	s_add_co_i32 s8, s3, s8
	s_load_b32 s3, s[6:7], 0x0
	s_lshr_b32 s7, s8, 24
	s_delay_alu instid0(SALU_CYCLE_1)
	s_mul_i32 s6, s7, s2
	s_add_co_i32 s9, s7, 1
	s_sub_co_i32 s8, 0x100, s6
	s_mov_b32 s6, s0
	s_sub_co_i32 s10, s8, s2
	s_cmp_ge_u32 s8, s2
	s_cselect_b32 s0, s9, s7
	s_cselect_b32 s7, s10, s8
	s_add_co_i32 s8, s0, 1
	s_cmp_ge_u32 s7, s2
	s_mov_b32 s7, s1
	s_cselect_b32 s0, s8, s0
	s_delay_alu instid0(SALU_CYCLE_1)
	s_add_co_i32 s1, s0, 1
	s_branch .LBB132_2
.LBB132_1:                              ;   in Loop: Header=BB132_2 Depth=1
	s_or_b32 exec_lo, exec_lo, s0
	s_add_co_i32 s0, s1, s3
	s_delay_alu instid0(VALU_DEP_1)
	v_add_nc_u16 v1, v3, v1
	s_add_co_i32 s2, s2, -1
	s_and_b32 s3, s0, 0xff
	s_wait_alu 0xfffe
	s_cmp_lg_u32 s2, 0
	s_wait_loadcnt 0x0
	s_barrier_signal -1
	s_barrier_wait -1
	global_inv scope:SCOPE_SE
	s_cbranch_scc0 .LBB132_4
.LBB132_2:                              ; =>This Inner Loop Header: Depth=1
	s_wait_kmcnt 0x0
	v_cmp_gt_u32_e64 s0, s3, v0
	s_wait_loadcnt 0x0
	v_mov_b32_e32 v3, v1
	ds_store_b8 v0, v1
	s_wait_dscnt 0x0
	s_barrier_signal -1
	s_and_b32 s8, vcc_lo, s0
	s_barrier_wait -1
	global_inv scope:SCOPE_SE
	s_and_saveexec_b32 s0, s8
	s_cbranch_execz .LBB132_1
; %bb.3:                                ;   in Loop: Header=BB132_2 Depth=1
	ds_load_u8 v3, v2
	s_wait_dscnt 0x0
	v_sub_nc_u16 v3, v1, v3
	s_branch .LBB132_1
.LBB132_4:
	s_add_nc_u64 s[0:1], s[6:7], s[4:5]
	s_delay_alu instid0(SALU_CYCLE_1)
	v_add_co_u32 v2, s0, s0, v0
	s_wait_alu 0xf1ff
	v_add_co_ci_u32_e64 v3, null, s1, 0, s0
	global_store_b8 v[2:3], v1, off
	s_endpgm
	.section	.rodata,"a",@progbits
	.p2align	6, 0x0
	.amdhsa_kernel _Z6kernelI26subtract_left_partial_tileLj256ELj1ELb0EJPaPiS1_jEEvDpT3_
		.amdhsa_group_segment_fixed_size 512
		.amdhsa_private_segment_fixed_size 0
		.amdhsa_kernarg_size 28
		.amdhsa_user_sgpr_count 2
		.amdhsa_user_sgpr_dispatch_ptr 0
		.amdhsa_user_sgpr_queue_ptr 0
		.amdhsa_user_sgpr_kernarg_segment_ptr 1
		.amdhsa_user_sgpr_dispatch_id 0
		.amdhsa_user_sgpr_private_segment_size 0
		.amdhsa_wavefront_size32 1
		.amdhsa_uses_dynamic_stack 0
		.amdhsa_enable_private_segment 0
		.amdhsa_system_sgpr_workgroup_id_x 1
		.amdhsa_system_sgpr_workgroup_id_y 0
		.amdhsa_system_sgpr_workgroup_id_z 0
		.amdhsa_system_sgpr_workgroup_info 0
		.amdhsa_system_vgpr_workitem_id 0
		.amdhsa_next_free_vgpr 4
		.amdhsa_next_free_sgpr 12
		.amdhsa_reserve_vcc 1
		.amdhsa_float_round_mode_32 0
		.amdhsa_float_round_mode_16_64 0
		.amdhsa_float_denorm_mode_32 3
		.amdhsa_float_denorm_mode_16_64 3
		.amdhsa_fp16_overflow 0
		.amdhsa_workgroup_processor_mode 1
		.amdhsa_memory_ordered 1
		.amdhsa_forward_progress 1
		.amdhsa_inst_pref_size 4
		.amdhsa_round_robin_scheduling 0
		.amdhsa_exception_fp_ieee_invalid_op 0
		.amdhsa_exception_fp_denorm_src 0
		.amdhsa_exception_fp_ieee_div_zero 0
		.amdhsa_exception_fp_ieee_overflow 0
		.amdhsa_exception_fp_ieee_underflow 0
		.amdhsa_exception_fp_ieee_inexact 0
		.amdhsa_exception_int_div_zero 0
	.end_amdhsa_kernel
	.section	.text._Z6kernelI26subtract_left_partial_tileLj256ELj1ELb0EJPaPiS1_jEEvDpT3_,"axG",@progbits,_Z6kernelI26subtract_left_partial_tileLj256ELj1ELb0EJPaPiS1_jEEvDpT3_,comdat
.Lfunc_end132:
	.size	_Z6kernelI26subtract_left_partial_tileLj256ELj1ELb0EJPaPiS1_jEEvDpT3_, .Lfunc_end132-_Z6kernelI26subtract_left_partial_tileLj256ELj1ELb0EJPaPiS1_jEEvDpT3_
                                        ; -- End function
	.set _Z6kernelI26subtract_left_partial_tileLj256ELj1ELb0EJPaPiS1_jEEvDpT3_.num_vgpr, 4
	.set _Z6kernelI26subtract_left_partial_tileLj256ELj1ELb0EJPaPiS1_jEEvDpT3_.num_agpr, 0
	.set _Z6kernelI26subtract_left_partial_tileLj256ELj1ELb0EJPaPiS1_jEEvDpT3_.numbered_sgpr, 12
	.set _Z6kernelI26subtract_left_partial_tileLj256ELj1ELb0EJPaPiS1_jEEvDpT3_.num_named_barrier, 0
	.set _Z6kernelI26subtract_left_partial_tileLj256ELj1ELb0EJPaPiS1_jEEvDpT3_.private_seg_size, 0
	.set _Z6kernelI26subtract_left_partial_tileLj256ELj1ELb0EJPaPiS1_jEEvDpT3_.uses_vcc, 1
	.set _Z6kernelI26subtract_left_partial_tileLj256ELj1ELb0EJPaPiS1_jEEvDpT3_.uses_flat_scratch, 0
	.set _Z6kernelI26subtract_left_partial_tileLj256ELj1ELb0EJPaPiS1_jEEvDpT3_.has_dyn_sized_stack, 0
	.set _Z6kernelI26subtract_left_partial_tileLj256ELj1ELb0EJPaPiS1_jEEvDpT3_.has_recursion, 0
	.set _Z6kernelI26subtract_left_partial_tileLj256ELj1ELb0EJPaPiS1_jEEvDpT3_.has_indirect_call, 0
	.section	.AMDGPU.csdata,"",@progbits
; Kernel info:
; codeLenInByte = 408
; TotalNumSgprs: 14
; NumVgprs: 4
; ScratchSize: 0
; MemoryBound: 0
; FloatMode: 240
; IeeeMode: 1
; LDSByteSize: 512 bytes/workgroup (compile time only)
; SGPRBlocks: 0
; VGPRBlocks: 0
; NumSGPRsForWavesPerEU: 14
; NumVGPRsForWavesPerEU: 4
; Occupancy: 16
; WaveLimiterHint : 0
; COMPUTE_PGM_RSRC2:SCRATCH_EN: 0
; COMPUTE_PGM_RSRC2:USER_SGPR: 2
; COMPUTE_PGM_RSRC2:TRAP_HANDLER: 0
; COMPUTE_PGM_RSRC2:TGID_X_EN: 1
; COMPUTE_PGM_RSRC2:TGID_Y_EN: 0
; COMPUTE_PGM_RSRC2:TGID_Z_EN: 0
; COMPUTE_PGM_RSRC2:TIDIG_COMP_CNT: 0
	.section	.text._Z6kernelI26subtract_left_partial_tileLj256ELj3ELb0EJPaPiS1_jEEvDpT3_,"axG",@progbits,_Z6kernelI26subtract_left_partial_tileLj256ELj3ELb0EJPaPiS1_jEEvDpT3_,comdat
	.protected	_Z6kernelI26subtract_left_partial_tileLj256ELj3ELb0EJPaPiS1_jEEvDpT3_ ; -- Begin function _Z6kernelI26subtract_left_partial_tileLj256ELj3ELb0EJPaPiS1_jEEvDpT3_
	.globl	_Z6kernelI26subtract_left_partial_tileLj256ELj3ELb0EJPaPiS1_jEEvDpT3_
	.p2align	8
	.type	_Z6kernelI26subtract_left_partial_tileLj256ELj3ELb0EJPaPiS1_jEEvDpT3_,@function
_Z6kernelI26subtract_left_partial_tileLj256ELj3ELb0EJPaPiS1_jEEvDpT3_: ; @_Z6kernelI26subtract_left_partial_tileLj256ELj3ELb0EJPaPiS1_jEEvDpT3_
; %bb.0:
	s_load_b128 s[4:7], s[0:1], 0x0
	s_mul_i32 s8, ttmp9, 0x300
	s_mov_b32 s9, 0
	s_load_b96 s[0:2], s[0:1], 0x10
	s_mov_b32 s10, ttmp9
	s_mov_b32 s11, s9
	v_dual_mov_b32 v4, 0 :: v_dual_add_nc_u32 v5, -1, v0
	v_mad_u32_u24 v2, v0, 3, 2
	v_mad_u32_u24 v3, v0, 3, 1
	v_cmp_ne_u32_e32 vcc_lo, 0, v0
	s_wait_kmcnt 0x0
	s_add_nc_u64 s[4:5], s[4:5], s[8:9]
	s_clause 0x2
	global_load_u8 v6, v0, s[4:5] offset:256
	global_load_u8 v7, v0, s[4:5] offset:512
	global_load_u8 v8, v0, s[4:5]
	s_cvt_f32_u32 s3, s2
	s_lshl_b64 s[4:5], s[10:11], 2
	s_sub_co_i32 s10, 0, s2
	s_add_nc_u64 s[4:5], s[6:7], s[4:5]
	v_rcp_iflag_f32_e32 v1, s3
	s_delay_alu instid0(TRANS32_DEP_1) | instskip(SKIP_3) | instid1(SALU_CYCLE_2)
	v_readfirstlane_b32 s3, v1
	v_mul_u32_u24_e32 v1, 3, v0
	s_mul_f32 s3, s3, 0x4f7ffffe
	s_wait_alu 0xfffe
	s_cvt_u32_f32 s3, s3
	s_wait_alu 0xfffe
	s_delay_alu instid0(SALU_CYCLE_2) | instskip(NEXT) | instid1(SALU_CYCLE_1)
	s_mul_i32 s10, s10, s3
	s_mul_hi_u32 s10, s3, s10
	s_delay_alu instid0(SALU_CYCLE_1) | instskip(SKIP_4) | instid1(SALU_CYCLE_1)
	s_add_co_i32 s6, s3, s10
	s_load_b32 s3, s[4:5], 0x0
	s_mul_hi_u32 s5, s6, 0x300
	s_mov_b32 s4, s0
	s_mul_i32 s6, s5, s2
	s_sub_co_i32 s0, 0x300, s6
	s_add_co_i32 s6, s5, 1
	s_sub_co_i32 s7, s0, s2
	s_cmp_ge_u32 s0, s2
	s_cselect_b32 s5, s6, s5
	s_cselect_b32 s0, s7, s0
	s_add_co_i32 s6, s5, 1
	s_cmp_ge_u32 s0, s2
	s_cselect_b32 s0, s6, s5
	s_mov_b32 s5, s1
	s_add_co_i32 s1, s0, 1
	s_wait_loadcnt 0x0
	v_perm_b32 v6, v8, v6, 0xc0c0004
	s_delay_alu instid0(VALU_DEP_1)
	v_lshl_or_b32 v6, v7, 16, v6
	v_mov_b32_e32 v7, 0
	s_branch .LBB133_2
.LBB133_1:                              ;   in Loop: Header=BB133_2 Depth=1
	s_wait_alu 0xfffe
	s_or_b32 exec_lo, exec_lo, s0
	v_lshrrev_b16 v10, 8, v6
	v_add_nc_u16 v8, v9, v8
	v_add_nc_u16 v6, v4, v6
	s_add_co_i32 s0, s1, s3
	s_add_co_i32 s2, s2, -1
	v_add_nc_u16 v9, v7, v10
	v_and_b32_e32 v10, 0xff, v8
	s_wait_alu 0xfffe
	s_mul_hi_u32 s3, s0, 0xaaaaaaab
	s_wait_loadcnt 0x0
	s_wait_alu 0xfffe
	s_lshr_b32 s3, s3, 9
	v_lshlrev_b16 v9, 8, v9
	v_lshlrev_b32_e32 v10, 16, v10
	s_wait_alu 0xfffe
	s_mulk_i32 s3, 0x300
	s_barrier_signal -1
	s_wait_alu 0xfffe
	s_sub_co_i32 s3, s0, s3
	v_perm_b32 v6, v6, v9, 0xc0c0104
	s_cmp_lg_u32 s2, 0
	s_barrier_wait -1
	global_inv scope:SCOPE_SE
	v_or_b32_e32 v6, v6, v10
	s_cbranch_scc0 .LBB133_4
.LBB133_2:                              ; =>This Inner Loop Header: Depth=1
	s_delay_alu instid0(VALU_DEP_1)
	v_lshrrev_b32_e32 v8, 16, v6
	v_lshrrev_b32_e32 v9, 8, v6
	v_and_b32_e32 v11, 0xffff0000, v6
	s_wait_kmcnt 0x0
	s_wait_alu 0xfffe
	v_cmp_gt_u32_e64 s0, s3, v2
	v_perm_b32 v4, v4, v7, 0xc0c0004
	ds_store_b8 v0, v8
	v_sub_nc_u16 v10, v8, v9
	v_sub_nc_u16 v7, v9, v6
	s_wait_dscnt 0x0
	s_barrier_signal -1
	s_barrier_wait -1
	v_perm_b32 v10, v10, v6, 0xc0c0304
	v_lshlrev_b16 v7, 8, v7
	global_inv scope:SCOPE_SE
	v_lshlrev_b32_e32 v10, 16, v10
	v_and_b32_e32 v7, 0xffff, v7
	s_wait_alu 0xf1ff
	s_delay_alu instid0(VALU_DEP_2) | instskip(SKIP_1) | instid1(VALU_DEP_2)
	v_cndmask_b32_e64 v9, v11, v10, s0
	v_cmp_gt_u32_e64 s0, s3, v3
	v_or_b32_e32 v4, v4, v9
	v_lshrrev_b32_e32 v9, 16, v9
	s_delay_alu instid0(VALU_DEP_2) | instskip(SKIP_1) | instid1(VALU_DEP_1)
	v_perm_b32 v10, v4, v6, 0xc0c0104
	s_wait_alu 0xf1ff
	v_cndmask_b32_e64 v7, v10, v7, s0
	v_cmp_gt_u32_e64 s0, s3, v1
	s_delay_alu instid0(VALU_DEP_2) | instskip(SKIP_1) | instid1(VALU_DEP_1)
	v_and_or_b32 v4, 0xff0000, v4, v7
	s_and_b32 s6, vcc_lo, s0
	v_lshrrev_b32_e32 v7, 8, v4
	v_mov_b32_e32 v4, v6
	s_and_saveexec_b32 s0, s6
	s_cbranch_execz .LBB133_1
; %bb.3:                                ;   in Loop: Header=BB133_2 Depth=1
	ds_load_u8 v4, v5
	s_wait_dscnt 0x0
	v_sub_nc_u16 v4, v6, v4
	s_branch .LBB133_1
.LBB133_4:
	s_add_nc_u64 s[0:1], s[4:5], s[8:9]
	s_delay_alu instid0(VALU_DEP_1)
	v_lshrrev_b32_e32 v2, 8, v6
	s_wait_alu 0xfffe
	v_add_co_u32 v0, s0, s0, v0
	s_wait_alu 0xf1ff
	v_add_co_ci_u32_e64 v1, null, s1, 0, s0
	s_clause 0x2
	global_store_b8 v[0:1], v6, off
	global_store_b8 v[0:1], v2, off offset:256
	global_store_b8 v[0:1], v8, off offset:512
	s_endpgm
	.section	.rodata,"a",@progbits
	.p2align	6, 0x0
	.amdhsa_kernel _Z6kernelI26subtract_left_partial_tileLj256ELj3ELb0EJPaPiS1_jEEvDpT3_
		.amdhsa_group_segment_fixed_size 512
		.amdhsa_private_segment_fixed_size 0
		.amdhsa_kernarg_size 28
		.amdhsa_user_sgpr_count 2
		.amdhsa_user_sgpr_dispatch_ptr 0
		.amdhsa_user_sgpr_queue_ptr 0
		.amdhsa_user_sgpr_kernarg_segment_ptr 1
		.amdhsa_user_sgpr_dispatch_id 0
		.amdhsa_user_sgpr_private_segment_size 0
		.amdhsa_wavefront_size32 1
		.amdhsa_uses_dynamic_stack 0
		.amdhsa_enable_private_segment 0
		.amdhsa_system_sgpr_workgroup_id_x 1
		.amdhsa_system_sgpr_workgroup_id_y 0
		.amdhsa_system_sgpr_workgroup_id_z 0
		.amdhsa_system_sgpr_workgroup_info 0
		.amdhsa_system_vgpr_workitem_id 0
		.amdhsa_next_free_vgpr 12
		.amdhsa_next_free_sgpr 12
		.amdhsa_reserve_vcc 1
		.amdhsa_float_round_mode_32 0
		.amdhsa_float_round_mode_16_64 0
		.amdhsa_float_denorm_mode_32 3
		.amdhsa_float_denorm_mode_16_64 3
		.amdhsa_fp16_overflow 0
		.amdhsa_workgroup_processor_mode 1
		.amdhsa_memory_ordered 1
		.amdhsa_forward_progress 1
		.amdhsa_inst_pref_size 7
		.amdhsa_round_robin_scheduling 0
		.amdhsa_exception_fp_ieee_invalid_op 0
		.amdhsa_exception_fp_denorm_src 0
		.amdhsa_exception_fp_ieee_div_zero 0
		.amdhsa_exception_fp_ieee_overflow 0
		.amdhsa_exception_fp_ieee_underflow 0
		.amdhsa_exception_fp_ieee_inexact 0
		.amdhsa_exception_int_div_zero 0
	.end_amdhsa_kernel
	.section	.text._Z6kernelI26subtract_left_partial_tileLj256ELj3ELb0EJPaPiS1_jEEvDpT3_,"axG",@progbits,_Z6kernelI26subtract_left_partial_tileLj256ELj3ELb0EJPaPiS1_jEEvDpT3_,comdat
.Lfunc_end133:
	.size	_Z6kernelI26subtract_left_partial_tileLj256ELj3ELb0EJPaPiS1_jEEvDpT3_, .Lfunc_end133-_Z6kernelI26subtract_left_partial_tileLj256ELj3ELb0EJPaPiS1_jEEvDpT3_
                                        ; -- End function
	.set _Z6kernelI26subtract_left_partial_tileLj256ELj3ELb0EJPaPiS1_jEEvDpT3_.num_vgpr, 12
	.set _Z6kernelI26subtract_left_partial_tileLj256ELj3ELb0EJPaPiS1_jEEvDpT3_.num_agpr, 0
	.set _Z6kernelI26subtract_left_partial_tileLj256ELj3ELb0EJPaPiS1_jEEvDpT3_.numbered_sgpr, 12
	.set _Z6kernelI26subtract_left_partial_tileLj256ELj3ELb0EJPaPiS1_jEEvDpT3_.num_named_barrier, 0
	.set _Z6kernelI26subtract_left_partial_tileLj256ELj3ELb0EJPaPiS1_jEEvDpT3_.private_seg_size, 0
	.set _Z6kernelI26subtract_left_partial_tileLj256ELj3ELb0EJPaPiS1_jEEvDpT3_.uses_vcc, 1
	.set _Z6kernelI26subtract_left_partial_tileLj256ELj3ELb0EJPaPiS1_jEEvDpT3_.uses_flat_scratch, 0
	.set _Z6kernelI26subtract_left_partial_tileLj256ELj3ELb0EJPaPiS1_jEEvDpT3_.has_dyn_sized_stack, 0
	.set _Z6kernelI26subtract_left_partial_tileLj256ELj3ELb0EJPaPiS1_jEEvDpT3_.has_recursion, 0
	.set _Z6kernelI26subtract_left_partial_tileLj256ELj3ELb0EJPaPiS1_jEEvDpT3_.has_indirect_call, 0
	.section	.AMDGPU.csdata,"",@progbits
; Kernel info:
; codeLenInByte = 780
; TotalNumSgprs: 14
; NumVgprs: 12
; ScratchSize: 0
; MemoryBound: 0
; FloatMode: 240
; IeeeMode: 1
; LDSByteSize: 512 bytes/workgroup (compile time only)
; SGPRBlocks: 0
; VGPRBlocks: 1
; NumSGPRsForWavesPerEU: 14
; NumVGPRsForWavesPerEU: 12
; Occupancy: 16
; WaveLimiterHint : 1
; COMPUTE_PGM_RSRC2:SCRATCH_EN: 0
; COMPUTE_PGM_RSRC2:USER_SGPR: 2
; COMPUTE_PGM_RSRC2:TRAP_HANDLER: 0
; COMPUTE_PGM_RSRC2:TGID_X_EN: 1
; COMPUTE_PGM_RSRC2:TGID_Y_EN: 0
; COMPUTE_PGM_RSRC2:TGID_Z_EN: 0
; COMPUTE_PGM_RSRC2:TIDIG_COMP_CNT: 0
	.section	.text._Z6kernelI26subtract_left_partial_tileLj256ELj4ELb0EJPaPiS1_jEEvDpT3_,"axG",@progbits,_Z6kernelI26subtract_left_partial_tileLj256ELj4ELb0EJPaPiS1_jEEvDpT3_,comdat
	.protected	_Z6kernelI26subtract_left_partial_tileLj256ELj4ELb0EJPaPiS1_jEEvDpT3_ ; -- Begin function _Z6kernelI26subtract_left_partial_tileLj256ELj4ELb0EJPaPiS1_jEEvDpT3_
	.globl	_Z6kernelI26subtract_left_partial_tileLj256ELj4ELb0EJPaPiS1_jEEvDpT3_
	.p2align	8
	.type	_Z6kernelI26subtract_left_partial_tileLj256ELj4ELb0EJPaPiS1_jEEvDpT3_,@function
_Z6kernelI26subtract_left_partial_tileLj256ELj4ELb0EJPaPiS1_jEEvDpT3_: ; @_Z6kernelI26subtract_left_partial_tileLj256ELj4ELb0EJPaPiS1_jEEvDpT3_
; %bb.0:
	s_load_b128 s[4:7], s[0:1], 0x0
	s_lshl_b32 s8, ttmp9, 10
	s_mov_b32 s9, 0
	s_load_b96 s[0:2], s[0:1], 0x10
	s_mov_b32 s10, ttmp9
	s_mov_b32 s11, s9
	v_dual_mov_b32 v5, 0 :: v_dual_add_nc_u32 v2, -1, v0
	v_mov_b32_e32 v7, 0
	v_cmp_ne_u32_e32 vcc_lo, 0, v0
	s_wait_kmcnt 0x0
	s_add_nc_u64 s[4:5], s[4:5], s[8:9]
	s_clause 0x3
	global_load_u8 v8, v0, s[4:5] offset:256
	global_load_u8 v9, v0, s[4:5] offset:512
	global_load_u8 v10, v0, s[4:5]
	global_load_u8 v11, v0, s[4:5] offset:768
	s_cvt_f32_u32 s3, s2
	s_lshl_b64 s[4:5], s[10:11], 2
	s_sub_co_i32 s10, 0, s2
	s_add_nc_u64 s[4:5], s[6:7], s[4:5]
	v_rcp_iflag_f32_e32 v1, s3
	s_delay_alu instid0(TRANS32_DEP_1) | instskip(SKIP_2) | instid1(VALU_DEP_1)
	v_readfirstlane_b32 s3, v1
	v_lshlrev_b32_e32 v1, 2, v0
	s_mul_f32 s3, s3, 0x4f7ffffe
	v_or_b32_e32 v3, 3, v1
	v_or_b32_e32 v4, 2, v1
	;; [unrolled: 1-line block ×3, first 2 shown]
	s_wait_alu 0xfffe
	s_cvt_u32_f32 s3, s3
	s_wait_alu 0xfffe
	s_delay_alu instid0(SALU_CYCLE_2) | instskip(NEXT) | instid1(SALU_CYCLE_1)
	s_mul_i32 s10, s10, s3
	s_mul_hi_u32 s10, s3, s10
	s_delay_alu instid0(SALU_CYCLE_1) | instskip(SKIP_4) | instid1(SALU_CYCLE_1)
	s_add_co_i32 s6, s3, s10
	s_load_b32 s3, s[4:5], 0x0
	s_lshr_b32 s5, s6, 22
	s_mov_b32 s4, s0
	s_mul_i32 s6, s5, s2
	s_sub_co_i32 s0, 0x400, s6
	s_add_co_i32 s6, s5, 1
	s_sub_co_i32 s7, s0, s2
	s_cmp_ge_u32 s0, s2
	s_cselect_b32 s5, s6, s5
	s_cselect_b32 s0, s7, s0
	s_add_co_i32 s6, s5, 1
	s_cmp_ge_u32 s0, s2
	s_cselect_b32 s0, s6, s5
	s_mov_b32 s5, s1
	s_add_co_i32 s1, s0, 1
	s_wait_loadcnt 0x1
	v_perm_b32 v8, v10, v8, 0xc0c0004
	s_wait_loadcnt 0x0
	v_perm_b32 v9, v9, v11, 0xc0c0004
	s_delay_alu instid0(VALU_DEP_1)
	v_lshl_or_b32 v8, v9, 16, v8
	v_mov_b32_e32 v9, 0
	s_branch .LBB134_2
.LBB134_1:                              ;   in Loop: Header=BB134_2 Depth=1
	s_wait_alu 0xfffe
	s_or_b32 exec_lo, exec_lo, s0
	v_lshrrev_b16 v13, 8, v8
	v_add_nc_u16 v8, v5, v8
	v_add_nc_u16 v10, v9, v10
	;; [unrolled: 1-line block ×3, first 2 shown]
	s_add_co_i32 s0, s1, s3
	v_add_nc_u16 v12, v7, v13
	v_and_b32_e32 v8, 0xff, v8
	v_and_b32_e32 v10, 0xff, v10
	v_lshlrev_b16 v11, 8, v11
	s_add_co_i32 s2, s2, -1
	v_lshlrev_b16 v12, 8, v12
	s_wait_alu 0xfffe
	s_and_b32 s3, s0, 0x3ff
	s_cmp_lg_u32 s2, 0
	v_or_b32_e32 v10, v10, v11
	s_wait_loadcnt 0x0
	v_or_b32_e32 v8, v8, v12
	s_barrier_signal -1
	s_barrier_wait -1
	v_lshlrev_b32_e32 v10, 16, v10
	global_inv scope:SCOPE_SE
	v_and_b32_e32 v8, 0xffff, v8
	s_delay_alu instid0(VALU_DEP_1)
	v_or_b32_e32 v8, v8, v10
	s_cbranch_scc0 .LBB134_4
.LBB134_2:                              ; =>This Inner Loop Header: Depth=1
	s_delay_alu instid0(VALU_DEP_1) | instskip(SKIP_1) | instid1(VALU_DEP_3)
	v_lshrrev_b32_e32 v10, 16, v8
	v_lshrrev_b32_e32 v11, 24, v8
	v_and_b32_e32 v13, 0xff, v9
	v_perm_b32 v9, v9, v8, 0xc0c0304
	s_wait_kmcnt 0x0
	s_wait_alu 0xfffe
	v_cmp_gt_u32_e64 s0, s3, v3
	v_perm_b32 v5, v5, v7, 0xc0c0004
	v_sub_nc_u16 v12, v11, v10
	ds_store_b8 v0, v11
	s_wait_dscnt 0x0
	s_barrier_signal -1
	s_barrier_wait -1
	v_lshlrev_b16 v12, 8, v12
	global_inv scope:SCOPE_SE
	v_or_b32_e32 v12, v13, v12
	s_wait_alu 0xf1ff
	s_delay_alu instid0(VALU_DEP_1) | instskip(SKIP_2) | instid1(VALU_DEP_3)
	v_cndmask_b32_e64 v7, v9, v12, s0
	v_lshrrev_b32_e32 v12, 8, v8
	v_cmp_gt_u32_e64 s0, s3, v4
	v_lshl_or_b32 v5, v7, 16, v5
	s_delay_alu instid0(VALU_DEP_3) | instskip(NEXT) | instid1(VALU_DEP_2)
	v_sub_nc_u16 v7, v10, v12
	v_perm_b32 v9, v8, v5, 0xc0c0306
	s_delay_alu instid0(VALU_DEP_2) | instskip(SKIP_1) | instid1(VALU_DEP_1)
	v_perm_b32 v7, v7, v5, 0xc0c0304
	s_wait_alu 0xf1ff
	v_cndmask_b32_e64 v9, v9, v7, s0
	v_sub_nc_u16 v7, v12, v8
	v_cmp_gt_u32_e64 s0, s3, v6
	s_delay_alu instid0(VALU_DEP_3) | instskip(NEXT) | instid1(VALU_DEP_3)
	v_lshlrev_b32_e32 v12, 16, v9
	v_lshlrev_b16 v7, 8, v7
	s_delay_alu instid0(VALU_DEP_2) | instskip(NEXT) | instid1(VALU_DEP_2)
	v_and_or_b32 v5, 0xffff, v5, v12
	v_and_b32_e32 v7, 0xffff, v7
	s_delay_alu instid0(VALU_DEP_2) | instskip(SKIP_1) | instid1(VALU_DEP_1)
	v_perm_b32 v12, v5, v8, 0xc0c0104
	s_wait_alu 0xf1ff
	v_cndmask_b32_e64 v7, v12, v7, s0
	v_cmp_gt_u32_e64 s0, s3, v1
	v_bfe_u32 v12, v9, 8, 8
	s_delay_alu instid0(VALU_DEP_3) | instskip(SKIP_1) | instid1(VALU_DEP_1)
	v_and_or_b32 v5, 0xff0000, v5, v7
	s_and_b32 s6, vcc_lo, s0
	v_lshrrev_b32_e32 v7, 8, v5
	v_mov_b32_e32 v5, v8
	s_and_saveexec_b32 s0, s6
	s_cbranch_execz .LBB134_1
; %bb.3:                                ;   in Loop: Header=BB134_2 Depth=1
	ds_load_u8 v5, v2
	s_wait_dscnt 0x0
	v_sub_nc_u16 v5, v8, v5
	s_branch .LBB134_1
.LBB134_4:
	s_add_nc_u64 s[0:1], s[4:5], s[8:9]
	s_delay_alu instid0(VALU_DEP_1)
	v_lshrrev_b32_e32 v2, 8, v8
	s_wait_alu 0xfffe
	v_add_co_u32 v0, s0, s0, v0
	s_wait_alu 0xf1ff
	v_add_co_ci_u32_e64 v1, null, s1, 0, s0
	v_lshrrev_b32_e32 v3, 24, v8
	s_clause 0x3
	global_store_b8 v[0:1], v8, off
	global_store_b8 v[0:1], v2, off offset:256
	global_store_d16_hi_b8 v[0:1], v8, off offset:512
	global_store_b8 v[0:1], v3, off offset:768
	s_endpgm
	.section	.rodata,"a",@progbits
	.p2align	6, 0x0
	.amdhsa_kernel _Z6kernelI26subtract_left_partial_tileLj256ELj4ELb0EJPaPiS1_jEEvDpT3_
		.amdhsa_group_segment_fixed_size 512
		.amdhsa_private_segment_fixed_size 0
		.amdhsa_kernarg_size 28
		.amdhsa_user_sgpr_count 2
		.amdhsa_user_sgpr_dispatch_ptr 0
		.amdhsa_user_sgpr_queue_ptr 0
		.amdhsa_user_sgpr_kernarg_segment_ptr 1
		.amdhsa_user_sgpr_dispatch_id 0
		.amdhsa_user_sgpr_private_segment_size 0
		.amdhsa_wavefront_size32 1
		.amdhsa_uses_dynamic_stack 0
		.amdhsa_enable_private_segment 0
		.amdhsa_system_sgpr_workgroup_id_x 1
		.amdhsa_system_sgpr_workgroup_id_y 0
		.amdhsa_system_sgpr_workgroup_id_z 0
		.amdhsa_system_sgpr_workgroup_info 0
		.amdhsa_system_vgpr_workitem_id 0
		.amdhsa_next_free_vgpr 14
		.amdhsa_next_free_sgpr 12
		.amdhsa_reserve_vcc 1
		.amdhsa_float_round_mode_32 0
		.amdhsa_float_round_mode_16_64 0
		.amdhsa_float_denorm_mode_32 3
		.amdhsa_float_denorm_mode_16_64 3
		.amdhsa_fp16_overflow 0
		.amdhsa_workgroup_processor_mode 1
		.amdhsa_memory_ordered 1
		.amdhsa_forward_progress 1
		.amdhsa_inst_pref_size 8
		.amdhsa_round_robin_scheduling 0
		.amdhsa_exception_fp_ieee_invalid_op 0
		.amdhsa_exception_fp_denorm_src 0
		.amdhsa_exception_fp_ieee_div_zero 0
		.amdhsa_exception_fp_ieee_overflow 0
		.amdhsa_exception_fp_ieee_underflow 0
		.amdhsa_exception_fp_ieee_inexact 0
		.amdhsa_exception_int_div_zero 0
	.end_amdhsa_kernel
	.section	.text._Z6kernelI26subtract_left_partial_tileLj256ELj4ELb0EJPaPiS1_jEEvDpT3_,"axG",@progbits,_Z6kernelI26subtract_left_partial_tileLj256ELj4ELb0EJPaPiS1_jEEvDpT3_,comdat
.Lfunc_end134:
	.size	_Z6kernelI26subtract_left_partial_tileLj256ELj4ELb0EJPaPiS1_jEEvDpT3_, .Lfunc_end134-_Z6kernelI26subtract_left_partial_tileLj256ELj4ELb0EJPaPiS1_jEEvDpT3_
                                        ; -- End function
	.set _Z6kernelI26subtract_left_partial_tileLj256ELj4ELb0EJPaPiS1_jEEvDpT3_.num_vgpr, 14
	.set _Z6kernelI26subtract_left_partial_tileLj256ELj4ELb0EJPaPiS1_jEEvDpT3_.num_agpr, 0
	.set _Z6kernelI26subtract_left_partial_tileLj256ELj4ELb0EJPaPiS1_jEEvDpT3_.numbered_sgpr, 12
	.set _Z6kernelI26subtract_left_partial_tileLj256ELj4ELb0EJPaPiS1_jEEvDpT3_.num_named_barrier, 0
	.set _Z6kernelI26subtract_left_partial_tileLj256ELj4ELb0EJPaPiS1_jEEvDpT3_.private_seg_size, 0
	.set _Z6kernelI26subtract_left_partial_tileLj256ELj4ELb0EJPaPiS1_jEEvDpT3_.uses_vcc, 1
	.set _Z6kernelI26subtract_left_partial_tileLj256ELj4ELb0EJPaPiS1_jEEvDpT3_.uses_flat_scratch, 0
	.set _Z6kernelI26subtract_left_partial_tileLj256ELj4ELb0EJPaPiS1_jEEvDpT3_.has_dyn_sized_stack, 0
	.set _Z6kernelI26subtract_left_partial_tileLj256ELj4ELb0EJPaPiS1_jEEvDpT3_.has_recursion, 0
	.set _Z6kernelI26subtract_left_partial_tileLj256ELj4ELb0EJPaPiS1_jEEvDpT3_.has_indirect_call, 0
	.section	.AMDGPU.csdata,"",@progbits
; Kernel info:
; codeLenInByte = 928
; TotalNumSgprs: 14
; NumVgprs: 14
; ScratchSize: 0
; MemoryBound: 0
; FloatMode: 240
; IeeeMode: 1
; LDSByteSize: 512 bytes/workgroup (compile time only)
; SGPRBlocks: 0
; VGPRBlocks: 1
; NumSGPRsForWavesPerEU: 14
; NumVGPRsForWavesPerEU: 14
; Occupancy: 16
; WaveLimiterHint : 1
; COMPUTE_PGM_RSRC2:SCRATCH_EN: 0
; COMPUTE_PGM_RSRC2:USER_SGPR: 2
; COMPUTE_PGM_RSRC2:TRAP_HANDLER: 0
; COMPUTE_PGM_RSRC2:TGID_X_EN: 1
; COMPUTE_PGM_RSRC2:TGID_Y_EN: 0
; COMPUTE_PGM_RSRC2:TGID_Z_EN: 0
; COMPUTE_PGM_RSRC2:TIDIG_COMP_CNT: 0
	.section	.text._Z6kernelI26subtract_left_partial_tileLj256ELj8ELb0EJPaPiS1_jEEvDpT3_,"axG",@progbits,_Z6kernelI26subtract_left_partial_tileLj256ELj8ELb0EJPaPiS1_jEEvDpT3_,comdat
	.protected	_Z6kernelI26subtract_left_partial_tileLj256ELj8ELb0EJPaPiS1_jEEvDpT3_ ; -- Begin function _Z6kernelI26subtract_left_partial_tileLj256ELj8ELb0EJPaPiS1_jEEvDpT3_
	.globl	_Z6kernelI26subtract_left_partial_tileLj256ELj8ELb0EJPaPiS1_jEEvDpT3_
	.p2align	8
	.type	_Z6kernelI26subtract_left_partial_tileLj256ELj8ELb0EJPaPiS1_jEEvDpT3_,@function
_Z6kernelI26subtract_left_partial_tileLj256ELj8ELb0EJPaPiS1_jEEvDpT3_: ; @_Z6kernelI26subtract_left_partial_tileLj256ELj8ELb0EJPaPiS1_jEEvDpT3_
; %bb.0:
	s_load_b128 s[4:7], s[0:1], 0x0
	s_lshl_b32 s8, ttmp9, 11
	s_mov_b32 s9, 0
	s_load_b96 s[0:2], s[0:1], 0x10
	s_mov_b32 s10, ttmp9
	s_mov_b32 s11, s9
	v_mov_b32_e32 v10, 0
	v_add_nc_u32_e32 v2, -1, v0
	v_cmp_ne_u32_e32 vcc_lo, 0, v0
	s_wait_kmcnt 0x0
	s_add_nc_u64 s[4:5], s[4:5], s[8:9]
	s_clause 0x7
	global_load_u8 v11, v0, s[4:5] offset:256
	global_load_u8 v12, v0, s[4:5] offset:1536
	;; [unrolled: 1-line block ×4, first 2 shown]
	global_load_u8 v15, v0, s[4:5]
	global_load_u8 v16, v0, s[4:5] offset:768
	global_load_u8 v17, v0, s[4:5] offset:1280
	;; [unrolled: 1-line block ×3, first 2 shown]
	s_cvt_f32_u32 s3, s2
	s_lshl_b64 s[4:5], s[10:11], 2
	s_sub_co_i32 s10, 0, s2
	s_add_nc_u64 s[4:5], s[6:7], s[4:5]
	v_rcp_iflag_f32_e32 v1, s3
	s_delay_alu instid0(TRANS32_DEP_1) | instskip(SKIP_2) | instid1(VALU_DEP_1)
	v_readfirstlane_b32 s3, v1
	v_lshlrev_b32_e32 v1, 3, v0
	s_mul_f32 s3, s3, 0x4f7ffffe
	v_or_b32_e32 v3, 7, v1
	v_or_b32_e32 v4, 6, v1
	;; [unrolled: 1-line block ×3, first 2 shown]
	s_wait_alu 0xfffe
	s_cvt_u32_f32 s3, s3
	v_or_b32_e32 v6, 4, v1
	v_or_b32_e32 v7, 3, v1
	;; [unrolled: 1-line block ×3, first 2 shown]
	s_wait_alu 0xfffe
	s_mul_i32 s10, s10, s3
	v_or_b32_e32 v9, 1, v1
	s_mul_hi_u32 s10, s3, s10
	s_delay_alu instid0(SALU_CYCLE_1)
	s_add_co_i32 s3, s3, s10
	s_wait_alu 0xfffe
	s_lshr_b32 s10, s3, 21
	s_load_b32 s3, s[4:5], 0x0
	s_mul_i32 s6, s10, s2
	s_mov_b32 s4, s0
	s_sub_co_i32 s5, 0x800, s6
	s_add_co_i32 s6, s10, 1
	s_sub_co_i32 s7, s5, s2
	s_cmp_ge_u32 s5, s2
	s_cselect_b32 s0, s6, s10
	s_cselect_b32 s5, s7, s5
	s_add_co_i32 s6, s0, 1
	s_cmp_ge_u32 s5, s2
	s_mov_b32 s5, s1
	s_cselect_b32 s0, s6, s0
	s_delay_alu instid0(SALU_CYCLE_1)
	s_add_co_i32 s1, s0, 1
	s_wait_loadcnt 0x3
	v_perm_b32 v11, v15, v11, 0xc0c0004
	s_wait_loadcnt 0x2
	v_perm_b32 v14, v14, v16, 0xc0c0004
	;; [unrolled: 2-line block ×4, first 2 shown]
	v_lshl_or_b32 v11, v14, 16, v11
	s_delay_alu instid0(VALU_DEP_2)
	v_lshl_or_b32 v12, v12, 16, v13
	v_mov_b32_e32 v13, 0
	s_branch .LBB135_2
.LBB135_1:                              ;   in Loop: Header=BB135_2 Depth=1
	s_wait_alu 0xfffe
	s_or_b32 exec_lo, exec_lo, s0
	v_lshrrev_b32_e32 v18, 24, v13
	v_lshrrev_b16 v19, 8, v11
	v_lshrrev_b16 v20, 8, v12
	;; [unrolled: 1-line block ×4, first 2 shown]
	v_add_nc_u16 v16, v18, v16
	v_add_nc_u16 v11, v10, v11
	;; [unrolled: 1-line block ×4, first 2 shown]
	v_lshrrev_b32_e32 v22, 16, v10
	v_lshlrev_b16 v21, 8, v16
	v_add_nc_u16 v16, v23, v20
	v_lshrrev_b32_e32 v18, 24, v10
	v_lshrrev_b32_e32 v24, 16, v13
	v_lshlrev_b16 v19, 8, v19
	v_and_b32_e32 v11, 0xff, v11
	v_lshlrev_b16 v16, 8, v16
	v_and_b32_e32 v12, 0xff, v12
	v_add_nc_u16 v14, v24, v14
	v_add_nc_u16 v17, v18, v17
	;; [unrolled: 1-line block ×3, first 2 shown]
	v_or_b32_e32 v11, v11, v19
	v_or_b32_e32 v12, v12, v16
	v_and_b32_e32 v18, 0xff, v14
	v_lshlrev_b16 v19, 8, v17
	v_and_b32_e32 v17, 0xff, v15
	v_and_b32_e32 v14, 0xffff, v11
	;; [unrolled: 1-line block ×3, first 2 shown]
	v_or_b32_e32 v16, v18, v21
	v_lshrrev_b32_e32 v20, 8, v21
	v_or_b32_e32 v17, v17, v19
	v_lshrrev_b32_e32 v18, 8, v14
	v_lshrrev_b32_e32 v19, 8, v19
	;; [unrolled: 1-line block ×3, first 2 shown]
	v_and_b32_e32 v11, 0xff, v11
	v_and_b32_e32 v22, 0xff, v17
	v_lshlrev_b16 v18, 8, v18
	v_lshlrev_b16 v19, 8, v19
	v_and_b32_e32 v12, 0xff, v12
	v_lshlrev_b16 v21, 8, v21
	v_and_b32_e32 v23, 0xff, v16
	v_lshlrev_b16 v20, 8, v20
	v_or_b32_e32 v11, v11, v18
	v_or_b32_e32 v18, v22, v19
	;; [unrolled: 1-line block ×3, first 2 shown]
	s_add_co_i32 s0, s1, s3
	v_or_b32_e32 v19, v23, v20
	v_and_b32_e32 v11, 0xffff, v11
	v_lshlrev_b32_e32 v18, 16, v18
	v_and_b32_e32 v12, 0xffff, v12
	s_add_co_i32 s2, s2, -1
	v_lshlrev_b32_e32 v19, 16, v19
	s_wait_alu 0xfffe
	s_and_b32 s3, s0, 0x7ff
	v_or_b32_e32 v11, v11, v18
	s_cmp_lg_u32 s2, 0
	s_wait_loadcnt 0x0
	v_or_b32_e32 v12, v12, v19
	s_barrier_signal -1
	s_barrier_wait -1
	global_inv scope:SCOPE_SE
	s_cbranch_scc0 .LBB135_4
.LBB135_2:                              ; =>This Inner Loop Header: Depth=1
	s_delay_alu instid0(VALU_DEP_2) | instskip(SKIP_1) | instid1(VALU_DEP_3)
	v_lshrrev_b32_e32 v14, 16, v12
	v_lshrrev_b32_e32 v16, 24, v12
	;; [unrolled: 1-line block ×6, first 2 shown]
	v_sub_nc_u16 v19, v16, v14
	v_and_b32_e32 v18, 0xff, v18
	v_and_b32_e32 v21, 0xffff, v13
	v_sub_nc_u16 v23, v17, v15
	v_and_b32_e32 v22, 0xff, v22
	v_lshlrev_b16 v19, 8, v19
	v_perm_b32 v13, v13, v12, 0xc0c0306
	v_perm_b32 v25, v10, v11, 0xc0c0306
	v_lshlrev_b16 v23, 8, v23
	s_wait_kmcnt 0x0
	s_wait_alu 0xfffe
	v_cmp_gt_u32_e64 s0, s3, v7
	v_or_b32_e32 v18, v18, v19
	v_lshrrev_b32_e32 v24, 8, v12
	v_lshl_or_b32 v13, v13, 16, v21
	v_or_b32_e32 v22, v22, v23
	v_lshrrev_b32_e32 v26, 8, v11
	v_lshlrev_b32_e32 v18, 16, v18
	v_and_b32_e32 v20, 0xffffff00, v12
	v_sub_nc_u16 v27, v12, v17
	s_wait_alu 0xf1ff
	v_cndmask_b32_e64 v22, v25, v22, s0
	v_cmp_gt_u32_e64 s0, s3, v3
	v_or_b32_e32 v18, v21, v18
	v_and_b32_e32 v21, 0xff, v10
	v_and_b32_e32 v19, 0xff, v12
	v_lshlrev_b32_e32 v22, 16, v22
	v_and_b32_e32 v23, 0xff, v14
	s_wait_alu 0xf1ff
	v_cndmask_b32_e64 v13, v13, v18, s0
	v_sub_nc_u16 v18, v24, v12
	v_cmp_gt_u32_e64 s0, s3, v8
	v_and_or_b32 v10, 0xffff, v10, v22
	v_sub_nc_u16 v22, v15, v26
	v_and_b32_e32 v25, 0xff, v13
	v_lshlrev_b16 v18, 8, v18
	v_sub_nc_u16 v24, v14, v24
	v_lshrrev_b32_e32 v13, 16, v13
	v_perm_b32 v22, v22, v10, 0xc0c0304
	v_or_b32_e32 v20, v25, v20
	v_or_b32_e32 v18, v25, v18
	v_sub_nc_u16 v25, v26, v11
	v_perm_b32 v26, v11, v10, 0xc0c0306
	v_and_b32_e32 v13, 0xffffff00, v13
	v_and_b32_e32 v20, 0xffff, v20
	;; [unrolled: 1-line block ×3, first 2 shown]
	v_lshlrev_b16 v25, 8, v25
	s_wait_alu 0xf1ff
	v_cndmask_b32_e64 v22, v26, v22, s0
	v_cmp_gt_u32_e64 s0, s3, v5
	ds_store_b8 v0, v16
	s_wait_dscnt 0x0
	v_or_b32_e32 v21, v21, v25
	v_lshlrev_b32_e32 v22, 16, v22
	s_wait_alu 0xf1ff
	v_cndmask_b32_e64 v18, v20, v18, s0
	v_and_b32_e32 v20, 0xff, v24
	v_and_b32_e32 v24, 0xff, v27
	;; [unrolled: 1-line block ×3, first 2 shown]
	v_and_or_b32 v10, 0xffff, v10, v22
	v_and_b32_e32 v18, 0xffffff00, v18
	v_cmp_gt_u32_e64 s0, s3, v9
	v_or_b32_e32 v20, v20, v13
	v_or_b32_e32 v13, v23, v13
	v_perm_b32 v22, v10, v11, 0xc0c0104
	v_or_b32_e32 v19, v19, v18
	v_or_b32_e32 v18, v24, v18
	s_barrier_signal -1
	s_barrier_wait -1
	s_wait_alu 0xf1ff
	v_cndmask_b32_e64 v21, v22, v21, s0
	v_cmp_gt_u32_e64 s0, s3, v4
	v_and_b32_e32 v19, 0xffff, v19
	v_and_b32_e32 v18, 0xffff, v18
	global_inv scope:SCOPE_SE
	v_and_or_b32 v10, 0xffff0000, v10, v21
	s_wait_alu 0xf1ff
	v_cndmask_b32_e64 v13, v13, v20, s0
	v_cmp_gt_u32_e64 s0, s3, v6
	s_delay_alu instid0(VALU_DEP_3) | instskip(SKIP_1) | instid1(VALU_DEP_2)
	v_perm_b32 v10, v11, v10, 0x3020104
	s_wait_alu 0xf1ff
	v_cndmask_b32_e64 v18, v19, v18, s0
	v_cmp_gt_u32_e64 s0, s3, v1
	s_delay_alu instid0(VALU_DEP_2) | instskip(SKIP_1) | instid1(SALU_CYCLE_1)
	v_lshl_or_b32 v13, v13, 16, v18
	s_and_b32 s6, vcc_lo, s0
	s_and_saveexec_b32 s0, s6
	s_cbranch_execz .LBB135_1
; %bb.3:                                ;   in Loop: Header=BB135_2 Depth=1
	ds_load_u8 v18, v2
	s_wait_dscnt 0x0
	v_sub_nc_u16 v18, v11, v18
	s_delay_alu instid0(VALU_DEP_1)
	v_perm_b32 v10, v18, v10, 0x3020104
	s_branch .LBB135_1
.LBB135_4:
	v_lshlrev_b32_e32 v2, 16, v17
	v_lshlrev_b32_e32 v1, 16, v16
	s_add_nc_u64 s[0:1], s[4:5], s[8:9]
	s_wait_alu 0xfffe
	v_add_co_u32 v0, s0, s0, v0
	v_or_b32_e32 v2, v14, v2
	v_or_b32_e32 v3, v15, v1
	s_wait_alu 0xf1ff
	v_add_co_ci_u32_e64 v1, null, s1, 0, s0
	s_delay_alu instid0(VALU_DEP_3)
	v_lshrrev_b32_e32 v4, 8, v2
	v_lshrrev_b32_e32 v5, 24, v2
	v_lshrrev_b32_e32 v6, 8, v3
	v_lshrrev_b32_e32 v7, 24, v3
	s_clause 0x7
	global_store_b8 v[0:1], v2, off
	global_store_b8 v[0:1], v4, off offset:256
	global_store_d16_hi_b8 v[0:1], v2, off offset:512
	global_store_b8 v[0:1], v5, off offset:768
	global_store_b8 v[0:1], v3, off offset:1024
	;; [unrolled: 1-line block ×3, first 2 shown]
	global_store_d16_hi_b8 v[0:1], v3, off offset:1536
	global_store_b8 v[0:1], v7, off offset:1792
	s_endpgm
	.section	.rodata,"a",@progbits
	.p2align	6, 0x0
	.amdhsa_kernel _Z6kernelI26subtract_left_partial_tileLj256ELj8ELb0EJPaPiS1_jEEvDpT3_
		.amdhsa_group_segment_fixed_size 512
		.amdhsa_private_segment_fixed_size 0
		.amdhsa_kernarg_size 28
		.amdhsa_user_sgpr_count 2
		.amdhsa_user_sgpr_dispatch_ptr 0
		.amdhsa_user_sgpr_queue_ptr 0
		.amdhsa_user_sgpr_kernarg_segment_ptr 1
		.amdhsa_user_sgpr_dispatch_id 0
		.amdhsa_user_sgpr_private_segment_size 0
		.amdhsa_wavefront_size32 1
		.amdhsa_uses_dynamic_stack 0
		.amdhsa_enable_private_segment 0
		.amdhsa_system_sgpr_workgroup_id_x 1
		.amdhsa_system_sgpr_workgroup_id_y 0
		.amdhsa_system_sgpr_workgroup_id_z 0
		.amdhsa_system_sgpr_workgroup_info 0
		.amdhsa_system_vgpr_workitem_id 0
		.amdhsa_next_free_vgpr 28
		.amdhsa_next_free_sgpr 12
		.amdhsa_reserve_vcc 1
		.amdhsa_float_round_mode_32 0
		.amdhsa_float_round_mode_16_64 0
		.amdhsa_float_denorm_mode_32 3
		.amdhsa_float_denorm_mode_16_64 3
		.amdhsa_fp16_overflow 0
		.amdhsa_workgroup_processor_mode 1
		.amdhsa_memory_ordered 1
		.amdhsa_forward_progress 1
		.amdhsa_inst_pref_size 14
		.amdhsa_round_robin_scheduling 0
		.amdhsa_exception_fp_ieee_invalid_op 0
		.amdhsa_exception_fp_denorm_src 0
		.amdhsa_exception_fp_ieee_div_zero 0
		.amdhsa_exception_fp_ieee_overflow 0
		.amdhsa_exception_fp_ieee_underflow 0
		.amdhsa_exception_fp_ieee_inexact 0
		.amdhsa_exception_int_div_zero 0
	.end_amdhsa_kernel
	.section	.text._Z6kernelI26subtract_left_partial_tileLj256ELj8ELb0EJPaPiS1_jEEvDpT3_,"axG",@progbits,_Z6kernelI26subtract_left_partial_tileLj256ELj8ELb0EJPaPiS1_jEEvDpT3_,comdat
.Lfunc_end135:
	.size	_Z6kernelI26subtract_left_partial_tileLj256ELj8ELb0EJPaPiS1_jEEvDpT3_, .Lfunc_end135-_Z6kernelI26subtract_left_partial_tileLj256ELj8ELb0EJPaPiS1_jEEvDpT3_
                                        ; -- End function
	.set _Z6kernelI26subtract_left_partial_tileLj256ELj8ELb0EJPaPiS1_jEEvDpT3_.num_vgpr, 28
	.set _Z6kernelI26subtract_left_partial_tileLj256ELj8ELb0EJPaPiS1_jEEvDpT3_.num_agpr, 0
	.set _Z6kernelI26subtract_left_partial_tileLj256ELj8ELb0EJPaPiS1_jEEvDpT3_.numbered_sgpr, 12
	.set _Z6kernelI26subtract_left_partial_tileLj256ELj8ELb0EJPaPiS1_jEEvDpT3_.num_named_barrier, 0
	.set _Z6kernelI26subtract_left_partial_tileLj256ELj8ELb0EJPaPiS1_jEEvDpT3_.private_seg_size, 0
	.set _Z6kernelI26subtract_left_partial_tileLj256ELj8ELb0EJPaPiS1_jEEvDpT3_.uses_vcc, 1
	.set _Z6kernelI26subtract_left_partial_tileLj256ELj8ELb0EJPaPiS1_jEEvDpT3_.uses_flat_scratch, 0
	.set _Z6kernelI26subtract_left_partial_tileLj256ELj8ELb0EJPaPiS1_jEEvDpT3_.has_dyn_sized_stack, 0
	.set _Z6kernelI26subtract_left_partial_tileLj256ELj8ELb0EJPaPiS1_jEEvDpT3_.has_recursion, 0
	.set _Z6kernelI26subtract_left_partial_tileLj256ELj8ELb0EJPaPiS1_jEEvDpT3_.has_indirect_call, 0
	.section	.AMDGPU.csdata,"",@progbits
; Kernel info:
; codeLenInByte = 1668
; TotalNumSgprs: 14
; NumVgprs: 28
; ScratchSize: 0
; MemoryBound: 0
; FloatMode: 240
; IeeeMode: 1
; LDSByteSize: 512 bytes/workgroup (compile time only)
; SGPRBlocks: 0
; VGPRBlocks: 3
; NumSGPRsForWavesPerEU: 14
; NumVGPRsForWavesPerEU: 28
; Occupancy: 16
; WaveLimiterHint : 1
; COMPUTE_PGM_RSRC2:SCRATCH_EN: 0
; COMPUTE_PGM_RSRC2:USER_SGPR: 2
; COMPUTE_PGM_RSRC2:TRAP_HANDLER: 0
; COMPUTE_PGM_RSRC2:TGID_X_EN: 1
; COMPUTE_PGM_RSRC2:TGID_Y_EN: 0
; COMPUTE_PGM_RSRC2:TGID_Z_EN: 0
; COMPUTE_PGM_RSRC2:TIDIG_COMP_CNT: 0
	.section	.text._Z6kernelI26subtract_left_partial_tileLj256ELj16ELb0EJPaPiS1_jEEvDpT3_,"axG",@progbits,_Z6kernelI26subtract_left_partial_tileLj256ELj16ELb0EJPaPiS1_jEEvDpT3_,comdat
	.protected	_Z6kernelI26subtract_left_partial_tileLj256ELj16ELb0EJPaPiS1_jEEvDpT3_ ; -- Begin function _Z6kernelI26subtract_left_partial_tileLj256ELj16ELb0EJPaPiS1_jEEvDpT3_
	.globl	_Z6kernelI26subtract_left_partial_tileLj256ELj16ELb0EJPaPiS1_jEEvDpT3_
	.p2align	8
	.type	_Z6kernelI26subtract_left_partial_tileLj256ELj16ELb0EJPaPiS1_jEEvDpT3_,@function
_Z6kernelI26subtract_left_partial_tileLj256ELj16ELb0EJPaPiS1_jEEvDpT3_: ; @_Z6kernelI26subtract_left_partial_tileLj256ELj16ELb0EJPaPiS1_jEEvDpT3_
; %bb.0:
	s_load_b128 s[4:7], s[0:1], 0x0
	s_lshl_b32 s8, ttmp9, 12
	s_mov_b32 s9, 0
	s_load_b96 s[0:2], s[0:1], 0x10
	s_mov_b32 s10, ttmp9
	s_mov_b32 s11, s9
	v_dual_mov_b32 v20, 0 :: v_dual_lshlrev_b32 v1, 4, v0
	s_lshl_b64 s[10:11], s[10:11], 2
	v_dual_mov_b32 v10, 0 :: v_dual_mov_b32 v27, 0
	v_add_nc_u32_e32 v2, -1, v0
	s_delay_alu instid0(VALU_DEP_3)
	v_or_b32_e32 v3, 15, v1
	v_or_b32_e32 v4, 14, v1
	;; [unrolled: 1-line block ×8, first 2 shown]
	s_wait_kmcnt 0x0
	s_add_nc_u64 s[4:5], s[4:5], s[8:9]
	s_add_nc_u64 s[6:7], s[6:7], s[10:11]
	s_clause 0xf
	global_load_u8 v19, v0, s[4:5] offset:256
	global_load_u8 v21, v0, s[4:5] offset:768
	;; [unrolled: 1-line block ×7, first 2 shown]
	global_load_u8 v28, v0, s[4:5]
	global_load_u8 v29, v0, s[4:5] offset:2304
	global_load_u8 v30, v0, s[4:5] offset:3584
	;; [unrolled: 1-line block ×8, first 2 shown]
	s_cvt_f32_u32 s3, s2
	s_sub_co_i32 s4, 0, s2
	v_or_b32_e32 v13, 6, v1
	v_or_b32_e32 v14, 5, v1
	v_rcp_iflag_f32_e32 v6, s3
	v_or_b32_e32 v15, 4, v1
	v_or_b32_e32 v16, 3, v1
	;; [unrolled: 1-line block ×4, first 2 shown]
	v_cmp_ne_u32_e32 vcc_lo, 0, v0
	s_delay_alu instid0(TRANS32_DEP_1) | instskip(SKIP_3) | instid1(SALU_CYCLE_2)
	v_readfirstlane_b32 s3, v6
	v_or_b32_e32 v6, 12, v1
	s_mul_f32 s3, s3, 0x4f7ffffe
	s_wait_alu 0xfffe
	s_cvt_u32_f32 s3, s3
	s_wait_alu 0xfffe
	s_delay_alu instid0(SALU_CYCLE_2) | instskip(NEXT) | instid1(SALU_CYCLE_1)
	s_mul_i32 s4, s4, s3
	s_mul_hi_u32 s4, s3, s4
	s_delay_alu instid0(SALU_CYCLE_1)
	s_add_co_i32 s3, s3, s4
	s_mov_b32 s4, s0
	s_wait_alu 0xfffe
	s_lshr_b32 s5, s3, 20
	s_load_b32 s3, s[6:7], 0x0
	s_mul_i32 s0, s5, s2
	s_add_co_i32 s10, s5, 1
	s_sub_co_i32 s0, 0x1000, s0
	s_delay_alu instid0(SALU_CYCLE_1)
	s_sub_co_i32 s11, s0, s2
	s_cmp_ge_u32 s0, s2
	s_cselect_b32 s5, s10, s5
	s_cselect_b32 s0, s11, s0
	s_add_co_i32 s6, s5, 1
	s_cmp_ge_u32 s0, s2
	s_cselect_b32 s0, s6, s5
	s_mov_b32 s5, s1
	s_add_co_i32 s1, s0, 1
	s_wait_loadcnt 0xb
	v_perm_b32 v23, v24, v23, 0xc0c0004
	s_wait_loadcnt 0xa
	v_perm_b32 v22, v25, v22, 0xc0c0004
	s_wait_loadcnt 0x9
	v_perm_b32 v21, v26, v21, 0xc0c0004
	s_wait_loadcnt 0x8
	v_perm_b32 v19, v28, v19, 0xc0c0004
	s_wait_loadcnt 0x3
	v_perm_b32 v24, v33, v29, 0xc0c0004
	s_wait_loadcnt 0x2
	v_perm_b32 v25, v32, v34, 0xc0c0004
	s_wait_loadcnt 0x1
	v_perm_b32 v26, v31, v35, 0xc0c0004
	s_wait_loadcnt 0x0
	v_perm_b32 v28, v30, v36, 0xc0c0004
	v_lshl_or_b32 v19, v21, 16, v19
	v_lshl_or_b32 v21, v23, 16, v22
	;; [unrolled: 1-line block ×3, first 2 shown]
	v_mov_b32_e32 v30, 0
	v_lshl_or_b32 v24, v28, 16, v26
	s_branch .LBB136_2
.LBB136_1:                              ;   in Loop: Header=BB136_2 Depth=1
	s_wait_alu 0xfffe
	s_or_b32 exec_lo, exec_lo, s0
	s_delay_alu instid0(VALU_DEP_1)
	v_lshrrev_b32_e32 v41, 24, v20
	v_lshrrev_b32_e32 v44, 16, v20
	v_lshrrev_b16 v37, 8, v24
	v_lshrrev_b16 v35, 8, v21
	;; [unrolled: 1-line block ×3, first 2 shown]
	v_add_nc_u16 v32, v41, v32
	v_lshrrev_b16 v41, 8, v30
	v_add_nc_u16 v31, v44, v31
	v_lshrrev_b32_e32 v44, 24, v30
	v_add_nc_u16 v24, v30, v24
	v_lshlrev_b16 v32, 8, v32
	v_add_nc_u16 v37, v41, v37
	v_and_b32_e32 v31, 0xff, v31
	v_add_nc_u16 v29, v44, v29
	v_lshrrev_b16 v34, 8, v19
	v_lshrrev_b16 v38, 8, v10
	v_lshlrev_b16 v37, 8, v37
	v_and_b32_e32 v24, 0xff, v24
	v_lshlrev_b16 v41, 8, v29
	v_or_b32_e32 v29, v31, v32
	v_add_nc_u16 v32, v42, v35
	v_add_nc_u16 v21, v27, v21
	v_lshrrev_b16 v36, 8, v22
	v_lshrrev_b32_e32 v43, 16, v27
	v_lshrrev_b16 v45, 8, v20
	v_lshrrev_b32_e32 v46, 16, v30
	v_or_b32_e32 v24, v24, v37
	v_lshrrev_b32_e32 v37, 24, v27
	v_lshlrev_b16 v32, 8, v32
	v_and_b32_e32 v21, 0xff, v21
	v_add_nc_u16 v34, v38, v34
	v_add_nc_u16 v19, v10, v19
	v_lshrrev_b32_e32 v39, 16, v10
	v_lshrrev_b32_e32 v40, 24, v10
	v_add_nc_u16 v28, v46, v28
	v_add_nc_u16 v36, v45, v36
	;; [unrolled: 1-line block ×5, first 2 shown]
	v_or_b32_e32 v21, v21, v32
	v_lshlrev_b16 v34, 8, v34
	v_and_b32_e32 v19, 0xff, v19
	v_and_b32_e32 v28, 0xff, v28
	v_lshlrev_b16 v36, 8, v36
	v_and_b32_e32 v22, 0xff, v22
	v_lshlrev_b16 v26, 8, v26
	v_and_b32_e32 v35, 0xff, v35
	v_add_nc_u16 v32, v40, v33
	v_add_nc_u16 v33, v39, v23
	v_and_b32_e32 v23, 0xffff, v21
	v_or_b32_e32 v19, v19, v34
	v_or_b32_e32 v31, v28, v41
	v_and_b32_e32 v28, 0xffff, v24
	v_or_b32_e32 v22, v22, v36
	v_lshlrev_b16 v36, 8, v32
	v_lshrrev_b32_e32 v37, 8, v26
	v_or_b32_e32 v32, v35, v26
	v_lshrrev_b32_e32 v34, 8, v23
	v_and_b32_e32 v26, 0xffff, v19
	v_and_b32_e32 v33, 0xff, v33
	v_lshlrev_b16 v35, 8, v37
	v_lshrrev_b32_e32 v37, 8, v28
	v_lshlrev_b16 v34, 8, v34
	v_lshrrev_b32_e32 v38, 8, v41
	v_lshrrev_b32_e32 v41, 8, v26
	v_or_b32_e32 v33, v33, v36
	v_and_b32_e32 v19, 0xff, v19
	v_lshrrev_b32_e32 v34, 8, v34
	v_lshlrev_b16 v38, 8, v38
	v_lshlrev_b16 v41, 8, v41
	v_lshrrev_b32_e32 v36, 8, v36
	v_lshlrev_b16 v37, 8, v37
	v_and_b32_e32 v25, 0xffff, v22
	v_lshrrev_b32_e32 v35, 8, v35
	v_lshrrev_b32_e32 v38, 8, v38
	v_or_b32_e32 v19, v19, v41
	v_and_b32_e32 v41, 0xff, v33
	v_lshlrev_b16 v36, 8, v36
	v_and_b32_e32 v21, 0xff, v21
	v_lshlrev_b16 v34, 8, v34
	v_lshrrev_b32_e32 v37, 8, v37
	v_lshrrev_b32_e32 v39, 8, v29
	;; [unrolled: 1-line block ×3, first 2 shown]
	v_or_b32_e32 v36, v41, v36
	v_or_b32_e32 v21, v21, v34
	v_and_b32_e32 v34, 0xff, v32
	v_lshlrev_b16 v35, 8, v35
	v_and_b32_e32 v24, 0xff, v24
	v_lshlrev_b16 v37, 8, v37
	;; [unrolled: 2-line block ×3, first 2 shown]
	v_lshlrev_b16 v39, 8, v39
	v_lshlrev_b16 v40, 8, v40
	v_or_b32_e32 v34, v34, v35
	v_lshlrev_b32_e32 v35, 16, v36
	v_or_b32_e32 v24, v24, v37
	v_or_b32_e32 v36, v41, v38
	v_and_b32_e32 v19, 0xffff, v19
	v_and_b32_e32 v21, 0xffff, v21
	v_lshlrev_b32_e32 v34, 16, v34
	v_perm_b32 v37, v29, v39, 0xc0c0104
	v_perm_b32 v22, v22, v40, 0xc0c0104
	v_and_b32_e32 v24, 0xffff, v24
	v_lshlrev_b32_e32 v36, 16, v36
	s_add_co_i32 s0, s1, s3
	v_or_b32_e32 v19, v19, v35
	v_or_b32_e32 v21, v21, v34
	v_lshl_or_b32 v22, v37, 16, v22
	v_or_b32_e32 v24, v24, v36
	s_add_co_i32 s2, s2, -1
	s_wait_alu 0xfffe
	s_and_b32 s3, s0, 0xfff
	s_cmp_lg_u32 s2, 0
	s_wait_loadcnt 0x0
	s_barrier_signal -1
	s_barrier_wait -1
	global_inv scope:SCOPE_SE
	s_cbranch_scc0 .LBB136_4
.LBB136_2:                              ; =>This Inner Loop Header: Depth=1
	v_lshrrev_b32_e32 v25, 16, v21
	v_lshrrev_b32_e32 v26, 24, v21
	;; [unrolled: 1-line block ×6, first 2 shown]
	v_sub_nc_u16 v32, v26, v25
	v_and_b32_e32 v31, 0xff, v31
	v_and_b32_e32 v36, 0xffff, v27
	v_sub_nc_u16 v35, v29, v28
	v_and_b32_e32 v34, 0xff, v34
	v_lshlrev_b16 v32, 8, v32
	v_perm_b32 v27, v27, v21, 0xc0c0306
	s_wait_kmcnt 0x0
	s_wait_alu 0xfffe
	v_cmp_gt_u32_e64 s0, s3, v12
	v_lshlrev_b16 v35, 8, v35
	v_lshrrev_b32_e32 v42, 8, v24
	v_or_b32_e32 v32, v31, v32
	v_lshrrev_b32_e32 v31, 16, v22
	v_lshl_or_b32 v27, v27, 16, v36
	v_or_b32_e32 v34, v34, v35
	v_and_b32_e32 v35, 0xffff, v30
	v_lshlrev_b32_e32 v32, 16, v32
	v_perm_b32 v30, v30, v24, 0xc0c0306
	v_and_b32_e32 v33, 0xffffff00, v21
	v_lshlrev_b32_e32 v34, 16, v34
	v_perm_b32 v43, v20, v22, 0xc0c0306
	v_or_b32_e32 v36, v36, v32
	v_lshrrev_b32_e32 v32, 24, v22
	v_lshl_or_b32 v30, v30, 16, v35
	v_or_b32_e32 v34, v35, v34
	v_lshrrev_b32_e32 v35, 16, v20
	s_wait_alu 0xf1ff
	v_cndmask_b32_e64 v27, v27, v36, s0
	v_sub_nc_u16 v36, v32, v31
	v_cmp_gt_u32_e64 s0, s3, v3
	v_sub_nc_u16 v44, v42, v24
	v_and_b32_e32 v35, 0xff, v35
	v_and_b32_e32 v39, 0xff, v27
	v_lshlrev_b16 v36, 8, v36
	s_wait_alu 0xf1ff
	v_cndmask_b32_e64 v30, v30, v34, s0
	v_cmp_gt_u32_e64 s0, s3, v7
	v_and_b32_e32 v38, 0xffffff00, v24
	v_or_b32_e32 v40, v39, v33
	v_or_b32_e32 v35, v35, v36
	v_and_b32_e32 v33, 0xff, v30
	v_lshlrev_b16 v44, 8, v44
	v_lshrrev_b32_e32 v45, 8, v22
	v_lshrrev_b32_e32 v30, 16, v30
	s_wait_alu 0xf1ff
	v_cndmask_b32_e64 v35, v43, v35, s0
	v_or_b32_e32 v36, v33, v38
	v_or_b32_e32 v33, v33, v44
	v_sub_nc_u16 v42, v28, v42
	v_sub_nc_u16 v44, v31, v45
	v_lshlrev_b32_e32 v35, 16, v35
	v_and_b32_e32 v36, 0xffff, v36
	v_and_b32_e32 v33, 0xffff, v33
	v_cmp_gt_u32_e64 s0, s3, v5
	v_and_b32_e32 v43, 0xff, v28
	v_and_or_b32 v35, 0xffff, v20, v35
	v_and_b32_e32 v30, 0xffffff00, v30
	v_and_b32_e32 v42, 0xff, v42
	s_wait_alu 0xf1ff
	v_cndmask_b32_e64 v33, v36, v33, s0
	v_cmp_gt_u32_e64 s0, s3, v8
	v_perm_b32 v46, v22, v35, 0xc0c0306
	v_perm_b32 v44, v44, v35, 0xc0c0304
	v_or_b32_e32 v42, v42, v30
	v_or_b32_e32 v30, v43, v30
	v_sub_nc_u16 v43, v45, v22
	v_and_b32_e32 v20, 0xff, v20
	s_wait_alu 0xf1ff
	v_cndmask_b32_e64 v44, v46, v44, s0
	v_lshrrev_b32_e32 v23, 16, v19
	v_and_b32_e32 v45, 0xffffff00, v33
	v_lshlrev_b16 v43, 8, v43
	v_cmp_gt_u32_e64 s0, s3, v4
	v_lshlrev_b32_e32 v44, 16, v44
	v_lshrrev_b32_e32 v33, 24, v19
	v_lshrrev_b32_e32 v41, 8, v21
	v_or_b32_e32 v20, v20, v43
	s_wait_alu 0xf1ff
	v_cndmask_b32_e64 v30, v30, v42, s0
	v_and_or_b32 v35, 0xffff, v35, v44
	v_lshrrev_b32_e32 v42, 16, v10
	v_sub_nc_u16 v43, v33, v23
	v_and_b32_e32 v20, 0xffff, v20
	v_cmp_gt_u32_e64 s0, s3, v9
	v_perm_b32 v44, v35, v22, 0xc0c0104
	v_sub_nc_u16 v36, v24, v32
	v_and_b32_e32 v42, 0xff, v42
	v_lshlrev_b16 v43, 8, v43
	v_and_b32_e32 v38, 0xff, v24
	s_wait_alu 0xf1ff
	v_cndmask_b32_e64 v20, v44, v20, s0
	v_and_b32_e32 v36, 0xff, v36
	v_perm_b32 v44, v10, v19, 0xc0c0306
	v_or_b32_e32 v42, v42, v43
	v_cmp_gt_u32_e64 s0, s3, v16
	v_and_or_b32 v20, 0xffff0000, v35, v20
	v_sub_nc_u16 v35, v41, v21
	v_or_b32_e32 v36, v36, v45
	v_or_b32_e32 v38, v38, v45
	s_wait_alu 0xf1ff
	v_cndmask_b32_e64 v42, v44, v42, s0
	v_cmp_gt_u32_e64 s0, s3, v6
	v_lshlrev_b16 v35, 8, v35
	v_and_b32_e32 v36, 0xffff, v36
	v_and_b32_e32 v38, 0xffff, v38
	v_lshlrev_b32_e32 v42, 16, v42
	v_lshrrev_b32_e32 v44, 8, v19
	v_or_b32_e32 v35, v39, v35
	v_and_b32_e32 v40, 0xffff, v40
	s_wait_alu 0xf1ff
	v_cndmask_b32_e64 v36, v38, v36, s0
	v_and_or_b32 v39, 0xffff, v10, v42
	v_sub_nc_u16 v42, v23, v44
	v_and_b32_e32 v35, 0xffff, v35
	v_cmp_gt_u32_e64 s0, s3, v14
	v_lshrrev_b32_e32 v27, 16, v27
	v_perm_b32 v45, v19, v39, 0xc0c0306
	v_perm_b32 v42, v42, v39, 0xc0c0304
	v_sub_nc_u16 v41, v25, v41
	s_wait_alu 0xf1ff
	v_cndmask_b32_e64 v35, v40, v35, s0
	v_cmp_gt_u32_e64 s0, s3, v17
	v_and_b32_e32 v37, 0xff, v21
	v_and_b32_e32 v34, 0xff, v25
	;; [unrolled: 1-line block ×4, first 2 shown]
	s_wait_alu 0xf1ff
	v_cndmask_b32_e64 v40, v45, v42, s0
	v_sub_nc_u16 v42, v44, v19
	v_sub_nc_u16 v44, v21, v33
	v_and_b32_e32 v35, 0xffffff00, v35
	v_and_b32_e32 v10, 0xff, v10
	v_lshlrev_b32_e32 v40, 16, v40
	v_lshlrev_b16 v42, 8, v42
	v_and_b32_e32 v44, 0xff, v44
	v_or_b32_e32 v41, v41, v27
	v_or_b32_e32 v37, v37, v35
	v_and_or_b32 v39, 0xffff, v39, v40
	v_or_b32_e32 v10, v10, v42
	v_or_b32_e32 v27, v34, v27
	v_cmp_gt_u32_e64 s0, s3, v13
	v_or_b32_e32 v35, v44, v35
	v_and_b32_e32 v34, 0xffff, v37
	v_perm_b32 v37, v39, v19, 0xc0c0104
	v_and_b32_e32 v10, 0xffff, v10
	s_wait_alu 0xf1ff
	v_cndmask_b32_e64 v27, v27, v41, s0
	v_cmp_gt_u32_e64 s0, s3, v18
	v_sub_nc_u16 v43, v22, v26
	v_and_b32_e32 v35, 0xffff, v35
	v_perm_b32 v38, v22, v20, 0xc0c0104
	v_lshl_or_b32 v30, v30, 16, v36
	s_wait_alu 0xf1ff
	v_cndmask_b32_e64 v10, v37, v10, s0
	v_cmp_gt_u32_e64 s0, s3, v15
	v_perm_b32 v43, v43, v20, 0xc0c0104
	ds_store_b8 v0, v29
	s_wait_dscnt 0x0
	v_and_or_b32 v10, 0xffff0000, v39, v10
	s_wait_alu 0xf1ff
	v_cndmask_b32_e64 v34, v34, v35, s0
	v_cmp_gt_u32_e64 s0, s3, v11
	s_barrier_signal -1
	s_barrier_wait -1
	v_perm_b32 v10, v19, v10, 0x3020104
	v_lshl_or_b32 v35, v27, 16, v34
	s_wait_alu 0xf1ff
	v_cndmask_b32_e64 v37, v38, v43, s0
	v_cmp_gt_u32_e64 s0, s3, v1
	global_inv scope:SCOPE_SE
	v_perm_b32 v27, v35, v35, 0x3060504
	v_and_or_b32 v34, 0xffff0000, v20, v37
	s_and_b32 s6, vcc_lo, s0
	s_delay_alu instid0(VALU_DEP_1)
	v_perm_b32 v20, v34, v34, 0x3020104
	s_and_saveexec_b32 s0, s6
	s_cbranch_execz .LBB136_1
; %bb.3:                                ;   in Loop: Header=BB136_2 Depth=1
	ds_load_u8 v20, v2
	v_mov_b32_e32 v27, v35
	s_wait_dscnt 0x0
	v_sub_nc_u16 v20, v19, v20
	s_delay_alu instid0(VALU_DEP_1)
	v_perm_b32 v10, v20, v10, 0x3020104
	v_mov_b32_e32 v20, v34
	s_branch .LBB136_1
.LBB136_4:
	v_lshlrev_b32_e32 v4, 16, v33
	v_lshlrev_b32_e32 v1, 16, v31
	;; [unrolled: 1-line block ×4, first 2 shown]
	s_add_nc_u64 s[0:1], s[4:5], s[8:9]
	v_or_b32_e32 v4, v26, v4
	s_wait_alu 0xfffe
	v_add_co_u32 v0, s0, s0, v0
	v_or_b32_e32 v5, v28, v1
	v_or_b32_e32 v2, v25, v2
	;; [unrolled: 1-line block ×3, first 2 shown]
	s_wait_alu 0xf1ff
	v_add_co_ci_u32_e64 v1, null, s1, 0, s0
	v_lshrrev_b32_e32 v6, 8, v4
	v_lshrrev_b32_e32 v7, 24, v4
	;; [unrolled: 1-line block ×4, first 2 shown]
	s_clause 0x7
	global_store_b8 v[0:1], v4, off
	global_store_b8 v[0:1], v6, off offset:256
	global_store_d16_hi_b8 v[0:1], v4, off offset:512
	global_store_b8 v[0:1], v7, off offset:768
	global_store_b8 v[0:1], v3, off offset:1024
	;; [unrolled: 1-line block ×3, first 2 shown]
	global_store_d16_hi_b8 v[0:1], v3, off offset:1536
	global_store_b8 v[0:1], v9, off offset:1792
	v_lshrrev_b32_e32 v3, 8, v2
	v_lshrrev_b32_e32 v4, 24, v2
	;; [unrolled: 1-line block ×4, first 2 shown]
	s_clause 0x7
	global_store_b8 v[0:1], v2, off offset:2048
	global_store_b8 v[0:1], v3, off offset:2304
	global_store_d16_hi_b8 v[0:1], v2, off offset:2560
	global_store_b8 v[0:1], v4, off offset:2816
	global_store_b8 v[0:1], v5, off offset:3072
	;; [unrolled: 1-line block ×3, first 2 shown]
	global_store_d16_hi_b8 v[0:1], v5, off offset:3584
	global_store_b8 v[0:1], v7, off offset:3840
	s_endpgm
	.section	.rodata,"a",@progbits
	.p2align	6, 0x0
	.amdhsa_kernel _Z6kernelI26subtract_left_partial_tileLj256ELj16ELb0EJPaPiS1_jEEvDpT3_
		.amdhsa_group_segment_fixed_size 512
		.amdhsa_private_segment_fixed_size 0
		.amdhsa_kernarg_size 28
		.amdhsa_user_sgpr_count 2
		.amdhsa_user_sgpr_dispatch_ptr 0
		.amdhsa_user_sgpr_queue_ptr 0
		.amdhsa_user_sgpr_kernarg_segment_ptr 1
		.amdhsa_user_sgpr_dispatch_id 0
		.amdhsa_user_sgpr_private_segment_size 0
		.amdhsa_wavefront_size32 1
		.amdhsa_uses_dynamic_stack 0
		.amdhsa_enable_private_segment 0
		.amdhsa_system_sgpr_workgroup_id_x 1
		.amdhsa_system_sgpr_workgroup_id_y 0
		.amdhsa_system_sgpr_workgroup_id_z 0
		.amdhsa_system_sgpr_workgroup_info 0
		.amdhsa_system_vgpr_workitem_id 0
		.amdhsa_next_free_vgpr 47
		.amdhsa_next_free_sgpr 12
		.amdhsa_reserve_vcc 1
		.amdhsa_float_round_mode_32 0
		.amdhsa_float_round_mode_16_64 0
		.amdhsa_float_denorm_mode_32 3
		.amdhsa_float_denorm_mode_16_64 3
		.amdhsa_fp16_overflow 0
		.amdhsa_workgroup_processor_mode 1
		.amdhsa_memory_ordered 1
		.amdhsa_forward_progress 1
		.amdhsa_inst_pref_size 24
		.amdhsa_round_robin_scheduling 0
		.amdhsa_exception_fp_ieee_invalid_op 0
		.amdhsa_exception_fp_denorm_src 0
		.amdhsa_exception_fp_ieee_div_zero 0
		.amdhsa_exception_fp_ieee_overflow 0
		.amdhsa_exception_fp_ieee_underflow 0
		.amdhsa_exception_fp_ieee_inexact 0
		.amdhsa_exception_int_div_zero 0
	.end_amdhsa_kernel
	.section	.text._Z6kernelI26subtract_left_partial_tileLj256ELj16ELb0EJPaPiS1_jEEvDpT3_,"axG",@progbits,_Z6kernelI26subtract_left_partial_tileLj256ELj16ELb0EJPaPiS1_jEEvDpT3_,comdat
.Lfunc_end136:
	.size	_Z6kernelI26subtract_left_partial_tileLj256ELj16ELb0EJPaPiS1_jEEvDpT3_, .Lfunc_end136-_Z6kernelI26subtract_left_partial_tileLj256ELj16ELb0EJPaPiS1_jEEvDpT3_
                                        ; -- End function
	.set _Z6kernelI26subtract_left_partial_tileLj256ELj16ELb0EJPaPiS1_jEEvDpT3_.num_vgpr, 47
	.set _Z6kernelI26subtract_left_partial_tileLj256ELj16ELb0EJPaPiS1_jEEvDpT3_.num_agpr, 0
	.set _Z6kernelI26subtract_left_partial_tileLj256ELj16ELb0EJPaPiS1_jEEvDpT3_.numbered_sgpr, 12
	.set _Z6kernelI26subtract_left_partial_tileLj256ELj16ELb0EJPaPiS1_jEEvDpT3_.num_named_barrier, 0
	.set _Z6kernelI26subtract_left_partial_tileLj256ELj16ELb0EJPaPiS1_jEEvDpT3_.private_seg_size, 0
	.set _Z6kernelI26subtract_left_partial_tileLj256ELj16ELb0EJPaPiS1_jEEvDpT3_.uses_vcc, 1
	.set _Z6kernelI26subtract_left_partial_tileLj256ELj16ELb0EJPaPiS1_jEEvDpT3_.uses_flat_scratch, 0
	.set _Z6kernelI26subtract_left_partial_tileLj256ELj16ELb0EJPaPiS1_jEEvDpT3_.has_dyn_sized_stack, 0
	.set _Z6kernelI26subtract_left_partial_tileLj256ELj16ELb0EJPaPiS1_jEEvDpT3_.has_recursion, 0
	.set _Z6kernelI26subtract_left_partial_tileLj256ELj16ELb0EJPaPiS1_jEEvDpT3_.has_indirect_call, 0
	.section	.AMDGPU.csdata,"",@progbits
; Kernel info:
; codeLenInByte = 3048
; TotalNumSgprs: 14
; NumVgprs: 47
; ScratchSize: 0
; MemoryBound: 0
; FloatMode: 240
; IeeeMode: 1
; LDSByteSize: 512 bytes/workgroup (compile time only)
; SGPRBlocks: 0
; VGPRBlocks: 5
; NumSGPRsForWavesPerEU: 14
; NumVGPRsForWavesPerEU: 47
; Occupancy: 16
; WaveLimiterHint : 1
; COMPUTE_PGM_RSRC2:SCRATCH_EN: 0
; COMPUTE_PGM_RSRC2:USER_SGPR: 2
; COMPUTE_PGM_RSRC2:TRAP_HANDLER: 0
; COMPUTE_PGM_RSRC2:TGID_X_EN: 1
; COMPUTE_PGM_RSRC2:TGID_Y_EN: 0
; COMPUTE_PGM_RSRC2:TGID_Z_EN: 0
; COMPUTE_PGM_RSRC2:TIDIG_COMP_CNT: 0
	.section	.text._Z6kernelI26subtract_left_partial_tileLj256ELj32ELb0EJPaPiS1_jEEvDpT3_,"axG",@progbits,_Z6kernelI26subtract_left_partial_tileLj256ELj32ELb0EJPaPiS1_jEEvDpT3_,comdat
	.protected	_Z6kernelI26subtract_left_partial_tileLj256ELj32ELb0EJPaPiS1_jEEvDpT3_ ; -- Begin function _Z6kernelI26subtract_left_partial_tileLj256ELj32ELb0EJPaPiS1_jEEvDpT3_
	.globl	_Z6kernelI26subtract_left_partial_tileLj256ELj32ELb0EJPaPiS1_jEEvDpT3_
	.p2align	8
	.type	_Z6kernelI26subtract_left_partial_tileLj256ELj32ELb0EJPaPiS1_jEEvDpT3_,@function
_Z6kernelI26subtract_left_partial_tileLj256ELj32ELb0EJPaPiS1_jEEvDpT3_: ; @_Z6kernelI26subtract_left_partial_tileLj256ELj32ELb0EJPaPiS1_jEEvDpT3_
; %bb.0:
	s_load_b128 s[4:7], s[0:1], 0x0
	s_lshl_b32 s8, ttmp9, 13
	s_mov_b32 s9, 0
	s_load_b96 s[0:2], s[0:1], 0x10
	s_mov_b32 s10, ttmp9
	s_mov_b32 s11, s9
	v_lshlrev_b32_e32 v9, 5, v0
	s_lshl_b64 s[10:11], s[10:11], 2
	v_add_nc_u32_e32 v10, -1, v0
	v_cmp_ne_u32_e32 vcc_lo, 0, v0
	s_delay_alu instid0(VALU_DEP_3)
	v_or_b32_e32 v11, 31, v9
	v_or_b32_e32 v12, 30, v9
	v_or_b32_e32 v13, 29, v9
	v_or_b32_e32 v14, 28, v9
	v_or_b32_e32 v15, 27, v9
	v_or_b32_e32 v16, 26, v9
	v_or_b32_e32 v17, 25, v9
	v_or_b32_e32 v18, 24, v9
	v_or_b32_e32 v19, 23, v9
	s_wait_kmcnt 0x0
	s_add_nc_u64 s[4:5], s[4:5], s[8:9]
	s_add_nc_u64 s[6:7], s[6:7], s[10:11]
	s_clause 0x1f
	global_load_u8 v1, v0, s[4:5] offset:256
	global_load_u8 v2, v0, s[4:5] offset:768
	;; [unrolled: 1-line block ×7, first 2 shown]
	global_load_u8 v8, v0, s[4:5]
	global_load_u8 v42, v0, s[4:5] offset:2304
	global_load_u8 v43, v0, s[4:5] offset:2816
	;; [unrolled: 1-line block ×24, first 2 shown]
	s_cvt_f32_u32 s3, s2
	s_sub_co_i32 s4, 0, s2
	v_or_b32_e32 v20, 22, v9
	v_or_b32_e32 v21, 21, v9
	v_rcp_iflag_f32_e32 v30, s3
	v_or_b32_e32 v22, 20, v9
	v_or_b32_e32 v23, 19, v9
	;; [unrolled: 1-line block ×9, first 2 shown]
	v_readfirstlane_b32 s3, v30
	v_or_b32_e32 v30, 12, v9
	v_or_b32_e32 v32, 10, v9
	;; [unrolled: 1-line block ×4, first 2 shown]
	s_mul_f32 s3, s3, 0x4f7ffffe
	v_or_b32_e32 v35, 7, v9
	v_or_b32_e32 v36, 6, v9
	v_or_b32_e32 v37, 5, v9
	s_wait_alu 0xfffe
	s_cvt_u32_f32 s3, s3
	v_or_b32_e32 v38, 4, v9
	v_or_b32_e32 v39, 3, v9
	;; [unrolled: 1-line block ×3, first 2 shown]
	s_wait_alu 0xfffe
	s_mul_i32 s4, s4, s3
	v_or_b32_e32 v41, 1, v9
	s_mul_hi_u32 s4, s3, s4
	s_delay_alu instid0(SALU_CYCLE_1)
	s_add_co_i32 s3, s3, s4
	s_mov_b32 s4, s0
	s_wait_alu 0xfffe
	s_lshr_b32 s5, s3, 19
	s_load_b32 s3, s[6:7], 0x0
	s_mul_i32 s0, s5, s2
	s_add_co_i32 s10, s5, 1
	s_sub_co_i32 s0, 0x2000, s0
	s_delay_alu instid0(SALU_CYCLE_1)
	s_sub_co_i32 s11, s0, s2
	s_cmp_ge_u32 s0, s2
	s_cselect_b32 s5, s10, s5
	s_cselect_b32 s0, s11, s0
	s_add_co_i32 s6, s5, 1
	s_cmp_ge_u32 s0, s2
	s_cselect_b32 s0, s6, s5
	s_mov_b32 s5, s1
	s_add_co_i32 s1, s0, 1
	s_wait_loadcnt 0x1b
	v_perm_b32 v4, v5, v4, 0xc0c0004
	s_wait_loadcnt 0x1a
	v_perm_b32 v6, v6, v3, 0xc0c0004
	;; [unrolled: 2-line block ×4, first 2 shown]
	v_lshl_or_b32 v4, v4, 16, v6
	s_delay_alu instid0(VALU_DEP_2)
	v_lshl_or_b32 v3, v2, 16, v1
	s_wait_loadcnt 0x12
	v_perm_b32 v8, v47, v44, 0xc0c0004
	s_wait_loadcnt 0x11
	v_perm_b32 v7, v48, v43, 0xc0c0004
	;; [unrolled: 2-line block ×3, first 2 shown]
	v_perm_b32 v42, v46, v45, 0xc0c0004
	s_wait_loadcnt 0xb
	v_perm_b32 v46, v54, v53, 0xc0c0004
	s_wait_loadcnt 0xa
	;; [unrolled: 2-line block ×4, first 2 shown]
	v_perm_b32 v43, v57, v50, 0xc0c0004
	v_lshl_or_b32 v1, v7, 16, v5
	v_lshl_or_b32 v2, v42, 16, v8
	;; [unrolled: 1-line block ×3, first 2 shown]
	s_wait_loadcnt 0x3
	v_perm_b32 v47, v62, v58, 0xc0c0004
	s_wait_loadcnt 0x2
	v_perm_b32 v48, v61, v63, 0xc0c0004
	;; [unrolled: 2-line block ×4, first 2 shown]
	v_lshl_or_b32 v7, v44, 16, v43
	v_lshl_or_b32 v5, v48, 16, v47
	s_delay_alu instid0(VALU_DEP_3)
	v_lshl_or_b32 v6, v50, 16, v49
	s_branch .LBB137_2
.LBB137_1:                              ;   in Loop: Header=BB137_2 Depth=1
	s_wait_alu 0xfffe
	s_or_b32 exec_lo, exec_lo, s0
	v_lshrrev_b32_e32 v73, 16, v6
	v_cmp_gt_u32_e64 s0, s3, v11
	v_lshrrev_b32_e32 v72, 8, v6
	v_lshrrev_b64 v[54:55], 24, v[1:2]
	v_lshrrev_b64 v[70:71], 24, v[5:6]
	;; [unrolled: 1-line block ×3, first 2 shown]
	s_wait_alu 0xf1ff
	v_cndmask_b32_e64 v43, 0, v73, s0
	v_cmp_gt_u32_e64 s0, s3, v12
	v_lshrrev_b32_e32 v69, 16, v5
	v_lshrrev_b32_e32 v68, 8, v5
	v_lshrrev_b64 v[45:46], 24, v[3:4]
	v_sub_nc_u16 v74, v42, v43
	s_wait_alu 0xf1ff
	v_cndmask_b32_e64 v55, 0, v72, s0
	v_cmp_gt_u32_e64 s0, s3, v13
	v_lshrrev_b32_e32 v66, 24, v8
	v_lshrrev_b32_e32 v65, 16, v8
	v_lshrrev_b32_e32 v64, 8, v8
	v_sub_nc_u16 v75, v73, v55
	s_wait_alu 0xf1ff
	v_cndmask_b32_e64 v59, 0, v6, s0
	v_cmp_gt_u32_e64 s0, s3, v14
	v_lshrrev_b32_e32 v61, 16, v7
	v_lshrrev_b32_e32 v60, 8, v7
	v_lshrrev_b32_e32 v58, 24, v2
	;; [unrolled: 7-line block ×5, first 2 shown]
	v_sub_nc_u16 v78, v69, v46
	s_wait_alu 0xf1ff
	v_cndmask_b32_e64 v55, 0, v5, s0
	v_cmp_gt_u32_e64 s0, s3, v18
	v_add_nc_u16 v71, v71, v6
	v_add_nc_u16 v72, v76, v72
	;; [unrolled: 1-line block ×3, first 2 shown]
	v_sub_nc_u16 v79, v68, v55
	s_wait_alu 0xf1ff
	v_cndmask_b32_e64 v59, 0, v66, s0
	v_cmp_gt_u32_e64 s0, s3, v19
	v_add_nc_u16 v42, v74, v42
	v_add_nc_u16 v69, v78, v69
	;; [unrolled: 1-line block ×3, first 2 shown]
	v_sub_nc_u16 v67, v5, v59
	s_wait_alu 0xf1ff
	v_cndmask_b32_e64 v63, 0, v65, s0
	v_cmp_gt_u32_e64 s0, s3, v20
	v_add_nc_u16 v70, v77, v70
	s_add_co_i32 s2, s2, -1
	v_add_nc_u16 v67, v67, v5
	v_sub_nc_u16 v80, v66, v63
	v_cndmask_b32_e64 v43, 0, v64, s0
	v_cmp_gt_u32_e64 s0, s3, v21
	v_lshlrev_b16 v79, 8, v70
	s_wait_loadcnt 0x0
	v_add_nc_u16 v66, v80, v66
	v_sub_nc_u16 v81, v65, v43
	s_wait_alu 0xf1ff
	v_cndmask_b32_e64 v46, 0, v8, s0
	v_cmp_gt_u32_e64 s0, s3, v22
	v_and_b32_e32 v80, 0xff, v71
	s_barrier_signal -1
	v_add_nc_u16 v65, v81, v65
	v_sub_nc_u16 v82, v64, v46
	s_wait_alu 0xf1ff
	v_cndmask_b32_e64 v55, 0, v62, s0
	v_cmp_gt_u32_e64 s0, s3, v23
	v_lshlrev_b16 v81, 8, v72
	s_barrier_wait -1
	v_add_nc_u16 v64, v82, v64
	v_sub_nc_u16 v83, v8, v55
	s_wait_alu 0xf1ff
	v_cndmask_b32_e64 v59, 0, v61, s0
	v_cmp_gt_u32_e64 s0, s3, v24
	v_and_b32_e32 v82, 0xff, v73
	v_lshlrev_b16 v78, 8, v64
	global_inv scope:SCOPE_SE
	v_sub_nc_u16 v84, v62, v59
	s_wait_alu 0xf1ff
	v_cndmask_b32_e64 v63, 0, v60, s0
	v_cmp_gt_u32_e64 s0, s3, v25
	s_delay_alu instid0(VALU_DEP_3) | instskip(NEXT) | instid1(VALU_DEP_3)
	v_add_nc_u16 v62, v84, v62
	v_sub_nc_u16 v63, v61, v63
	s_wait_alu 0xf1ff
	s_delay_alu instid0(VALU_DEP_3) | instskip(SKIP_1) | instid1(VALU_DEP_3)
	v_cndmask_b32_e64 v43, 0, v7, s0
	v_cmp_gt_u32_e64 s0, s3, v26
	v_add_nc_u16 v61, v63, v61
	s_delay_alu instid0(VALU_DEP_3) | instskip(SKIP_1) | instid1(VALU_DEP_3)
	v_sub_nc_u16 v86, v60, v43
	s_wait_alu 0xf1ff
	v_cndmask_b32_e64 v46, 0, v58, s0
	v_cmp_gt_u32_e64 s0, s3, v27
	v_add_nc_u16 v63, v83, v8
	v_lshlrev_b16 v83, 8, v42
	v_add_nc_u16 v60, v86, v60
	v_sub_nc_u16 v87, v7, v46
	s_wait_alu 0xf1ff
	v_cndmask_b32_e64 v55, 0, v57, s0
	v_cmp_gt_u32_e64 s0, s3, v28
	v_and_b32_e32 v77, 0xff, v63
	s_delay_alu instid0(VALU_DEP_3) | instskip(SKIP_1) | instid1(VALU_DEP_3)
	v_sub_nc_u16 v88, v58, v55
	s_wait_alu 0xf1ff
	v_cndmask_b32_e64 v59, 0, v56, s0
	v_cmp_gt_u32_e64 s0, s3, v29
	s_delay_alu instid0(VALU_DEP_3) | instskip(NEXT) | instid1(VALU_DEP_3)
	v_add_nc_u16 v58, v88, v58
	v_sub_nc_u16 v59, v57, v59
	s_wait_alu 0xf1ff
	s_delay_alu instid0(VALU_DEP_3) | instskip(SKIP_1) | instid1(VALU_DEP_3)
	v_cndmask_b32_e64 v85, 0, v2, s0
	v_cmp_gt_u32_e64 s0, s3, v30
	v_add_nc_u16 v57, v59, v57
	v_add_nc_u16 v59, v87, v7
	s_wait_alu 0xf1ff
	s_delay_alu instid0(VALU_DEP_3) | instskip(SKIP_2) | instid1(VALU_DEP_3)
	v_cndmask_b32_e64 v43, 0, v54, s0
	v_cmp_gt_u32_e64 s0, s3, v39
	v_sub_nc_u16 v85, v56, v85
	v_sub_nc_u16 v89, v2, v43
	s_wait_alu 0xf1ff
	s_delay_alu instid0(VALU_DEP_3) | instskip(SKIP_2) | instid1(VALU_DEP_3)
	v_cndmask_b32_e64 v46, 0, v47, s0
	v_cmp_gt_u32_e64 s0, s3, v31
	v_add_nc_u16 v56, v85, v56
	v_sub_nc_u16 v46, v45, v46
	s_wait_alu 0xf1ff
	s_delay_alu instid0(VALU_DEP_3) | instskip(SKIP_1) | instid1(VALU_DEP_2)
	v_cndmask_b32_e64 v55, 0, v53, s0
	v_cmp_gt_u32_e64 s0, s3, v38
	v_sub_nc_u16 v55, v54, v55
	s_wait_alu 0xf1ff
	s_delay_alu instid0(VALU_DEP_2) | instskip(SKIP_1) | instid1(VALU_DEP_3)
	v_cndmask_b32_e64 v43, 0, v45, s0
	v_cmp_gt_u32_e64 s0, s3, v33
	v_add_nc_u16 v54, v55, v54
	s_delay_alu instid0(VALU_DEP_3) | instskip(SKIP_1) | instid1(VALU_DEP_3)
	v_sub_nc_u16 v91, v4, v43
	s_wait_alu 0xf1ff
	v_cndmask_b32_e64 v90, 0, v1, s0
	v_cmp_gt_u32_e64 s0, s3, v40
	v_add_nc_u16 v43, v46, v45
	v_add_nc_u16 v45, v44, v3
	;; [unrolled: 1-line block ×3, first 2 shown]
	v_sub_nc_u16 v90, v52, v90
	s_wait_alu 0xf1ff
	v_cndmask_b32_e64 v46, 0, v51, s0
	v_cmp_gt_u32_e64 s0, s3, v41
	v_add_nc_u16 v55, v89, v2
	v_lshlrev_b16 v76, 8, v54
	s_wait_alu 0xf1ff
	s_delay_alu instid0(VALU_DEP_3) | instskip(SKIP_2) | instid1(VALU_DEP_1)
	v_cndmask_b32_e64 v92, 0, v3, s0
	v_cmp_gt_u32_e64 s0, s3, v37
	s_wait_alu 0xf1ff
	v_cndmask_b32_e64 v3, 0, v4, s0
	v_cmp_gt_u32_e64 s0, s3, v34
	v_sub_nc_u16 v4, v51, v92
	v_sub_nc_u16 v92, v47, v46
	s_delay_alu instid0(VALU_DEP_4)
	v_sub_nc_u16 v3, v48, v3
	s_wait_alu 0xf1ff
	v_cndmask_b32_e64 v91, 0, v50, s0
	v_cmp_gt_u32_e64 s0, s3, v36
	v_add_nc_u16 v46, v4, v51
	v_add_nc_u16 v47, v92, v47
	s_delay_alu instid0(VALU_DEP_4)
	v_sub_nc_u16 v91, v1, v91
	s_wait_alu 0xf1ff
	v_cndmask_b32_e64 v4, 0, v48, s0
	v_cmp_gt_u32_e64 s0, s3, v35
	v_add_nc_u16 v48, v3, v48
	v_lshlrev_b16 v2, 8, v46
	s_delay_alu instid0(VALU_DEP_4)
	v_sub_nc_u16 v4, v49, v4
	s_wait_alu 0xf1ff
	v_cndmask_b32_e64 v51, 0, v49, s0
	v_cmp_gt_u32_e64 s0, s3, v32
	v_lshlrev_b16 v5, 8, v48
	v_add_nc_u16 v49, v4, v49
	s_delay_alu instid0(VALU_DEP_4)
	v_sub_nc_u16 v51, v50, v51
	s_wait_alu 0xf1ff
	v_cndmask_b32_e64 v3, 0, v52, s0
	v_add_nc_u16 v52, v90, v52
	v_and_b32_e32 v4, 0xff, v44
	v_and_b32_e32 v6, 0xff, v49
	v_add_nc_u16 v50, v51, v50
	v_sub_nc_u16 v3, v53, v3
	v_add_nc_u16 v51, v91, v1
	v_and_b32_e32 v1, 0xff, v45
	v_lshlrev_b16 v74, 8, v52
	v_lshlrev_b16 v7, 8, v50
	v_add_nc_u16 v53, v3, v53
	v_lshlrev_b16 v3, 8, v43
	v_or_b32_e32 v1, v1, v2
	v_and_b32_e32 v2, 0xff, v47
	v_and_b32_e32 v8, 0xff, v51
	;; [unrolled: 1-line block ×3, first 2 shown]
	s_add_co_i32 s0, s1, s3
	v_and_b32_e32 v1, 0xffff, v1
	v_or_b32_e32 v2, v2, v3
	v_or_b32_e32 v3, v4, v5
	;; [unrolled: 1-line block ×5, first 2 shown]
	v_lshlrev_b32_e32 v2, 16, v2
	v_and_b32_e32 v7, 0xffff, v3
	v_lshlrev_b32_e32 v4, 16, v4
	v_and_b32_e32 v5, 0xffff, v5
	v_lshlrev_b32_e32 v6, 16, v6
	v_or_b32_e32 v3, v1, v2
	v_and_b32_e32 v2, 0xff, v55
	v_or_b32_e32 v4, v7, v4
	v_lshlrev_b16 v7, 8, v58
	v_or_b32_e32 v1, v5, v6
	v_lshlrev_b16 v5, 8, v56
	v_and_b32_e32 v6, 0xff, v57
	v_and_b32_e32 v8, 0xff, v59
	v_lshlrev_b16 v74, 8, v60
	v_and_b32_e32 v75, 0xff, v61
	v_lshlrev_b16 v76, 8, v62
	v_or_b32_e32 v2, v2, v5
	v_or_b32_e32 v5, v6, v7
	;; [unrolled: 1-line block ×5, first 2 shown]
	v_and_b32_e32 v74, 0xff, v65
	v_lshlrev_b16 v75, 8, v66
	v_and_b32_e32 v76, 0xff, v67
	v_lshlrev_b16 v77, 8, v68
	v_and_b32_e32 v78, 0xff, v69
	v_and_b32_e32 v2, 0xffff, v2
	v_or_b32_e32 v74, v74, v75
	v_lshlrev_b32_e32 v5, 16, v5
	v_or_b32_e32 v75, v76, v77
	v_or_b32_e32 v76, v78, v79
	;; [unrolled: 1-line block ×4, first 2 shown]
	v_and_b32_e32 v6, 0xffff, v6
	v_lshlrev_b32_e32 v7, 16, v7
	v_and_b32_e32 v8, 0xffff, v8
	v_lshlrev_b32_e32 v74, 16, v74
	;; [unrolled: 2-line block ×4, first 2 shown]
	v_or_b32_e32 v2, v2, v5
	v_or_b32_e32 v7, v6, v7
	;; [unrolled: 1-line block ×5, first 2 shown]
	s_wait_alu 0xfffe
	s_and_b32 s3, s0, 0x1fff
	s_cmp_lg_u32 s2, 0
	s_cbranch_scc0 .LBB137_4
.LBB137_2:                              ; =>This Inner Loop Header: Depth=1
	s_wait_kmcnt 0x0
	s_wait_alu 0xfffe
	v_cmp_gt_u32_e64 s0, s3, v9
	v_lshrrev_b32_e32 v42, 24, v6
	v_mov_b32_e32 v44, v3
	s_and_b32 s6, vcc_lo, s0
	ds_store_b8 v0, v42
	s_wait_dscnt 0x0
	s_barrier_signal -1
	s_barrier_wait -1
	global_inv scope:SCOPE_SE
	s_and_saveexec_b32 s0, s6
	s_cbranch_execz .LBB137_1
; %bb.3:                                ;   in Loop: Header=BB137_2 Depth=1
	ds_load_u8 v43, v10
	s_wait_dscnt 0x0
	v_sub_nc_u16 v44, v3, v43
	s_branch .LBB137_1
.LBB137_4:
	s_add_nc_u64 s[0:1], s[4:5], s[8:9]
	s_wait_alu 0xfffe
	v_add_co_u32 v0, s0, s0, v0
	s_wait_alu 0xf1ff
	v_add_co_ci_u32_e64 v1, null, s1, 0, s0
	s_clause 0x1f
	global_store_b8 v[0:1], v45, off
	global_store_b8 v[0:1], v46, off offset:256
	global_store_b8 v[0:1], v47, off offset:512
	global_store_b8 v[0:1], v43, off offset:768
	global_store_b8 v[0:1], v44, off offset:1024
	global_store_b8 v[0:1], v48, off offset:1280
	global_store_b8 v[0:1], v49, off offset:1536
	global_store_b8 v[0:1], v50, off offset:1792
	global_store_b8 v[0:1], v51, off offset:2048
	global_store_b8 v[0:1], v52, off offset:2304
	global_store_b8 v[0:1], v53, off offset:2560
	global_store_b8 v[0:1], v54, off offset:2816
	global_store_b8 v[0:1], v55, off offset:3072
	global_store_b8 v[0:1], v56, off offset:3328
	global_store_b8 v[0:1], v57, off offset:3584
	global_store_b8 v[0:1], v58, off offset:3840
	global_store_b8 v[0:1], v59, off offset:4096
	global_store_b8 v[0:1], v60, off offset:4352
	global_store_b8 v[0:1], v61, off offset:4608
	global_store_b8 v[0:1], v62, off offset:4864
	global_store_b8 v[0:1], v63, off offset:5120
	global_store_b8 v[0:1], v64, off offset:5376
	global_store_b8 v[0:1], v65, off offset:5632
	global_store_b8 v[0:1], v66, off offset:5888
	global_store_b8 v[0:1], v67, off offset:6144
	global_store_b8 v[0:1], v68, off offset:6400
	global_store_b8 v[0:1], v69, off offset:6656
	global_store_b8 v[0:1], v70, off offset:6912
	global_store_b8 v[0:1], v71, off offset:7168
	global_store_b8 v[0:1], v72, off offset:7424
	global_store_b8 v[0:1], v73, off offset:7680
	global_store_b8 v[0:1], v42, off offset:7936
	s_endpgm
	.section	.rodata,"a",@progbits
	.p2align	6, 0x0
	.amdhsa_kernel _Z6kernelI26subtract_left_partial_tileLj256ELj32ELb0EJPaPiS1_jEEvDpT3_
		.amdhsa_group_segment_fixed_size 512
		.amdhsa_private_segment_fixed_size 0
		.amdhsa_kernarg_size 28
		.amdhsa_user_sgpr_count 2
		.amdhsa_user_sgpr_dispatch_ptr 0
		.amdhsa_user_sgpr_queue_ptr 0
		.amdhsa_user_sgpr_kernarg_segment_ptr 1
		.amdhsa_user_sgpr_dispatch_id 0
		.amdhsa_user_sgpr_private_segment_size 0
		.amdhsa_wavefront_size32 1
		.amdhsa_uses_dynamic_stack 0
		.amdhsa_enable_private_segment 0
		.amdhsa_system_sgpr_workgroup_id_x 1
		.amdhsa_system_sgpr_workgroup_id_y 0
		.amdhsa_system_sgpr_workgroup_id_z 0
		.amdhsa_system_sgpr_workgroup_info 0
		.amdhsa_system_vgpr_workitem_id 0
		.amdhsa_next_free_vgpr 93
		.amdhsa_next_free_sgpr 12
		.amdhsa_reserve_vcc 1
		.amdhsa_float_round_mode_32 0
		.amdhsa_float_round_mode_16_64 0
		.amdhsa_float_denorm_mode_32 3
		.amdhsa_float_denorm_mode_16_64 3
		.amdhsa_fp16_overflow 0
		.amdhsa_workgroup_processor_mode 1
		.amdhsa_memory_ordered 1
		.amdhsa_forward_progress 1
		.amdhsa_inst_pref_size 27
		.amdhsa_round_robin_scheduling 0
		.amdhsa_exception_fp_ieee_invalid_op 0
		.amdhsa_exception_fp_denorm_src 0
		.amdhsa_exception_fp_ieee_div_zero 0
		.amdhsa_exception_fp_ieee_overflow 0
		.amdhsa_exception_fp_ieee_underflow 0
		.amdhsa_exception_fp_ieee_inexact 0
		.amdhsa_exception_int_div_zero 0
	.end_amdhsa_kernel
	.section	.text._Z6kernelI26subtract_left_partial_tileLj256ELj32ELb0EJPaPiS1_jEEvDpT3_,"axG",@progbits,_Z6kernelI26subtract_left_partial_tileLj256ELj32ELb0EJPaPiS1_jEEvDpT3_,comdat
.Lfunc_end137:
	.size	_Z6kernelI26subtract_left_partial_tileLj256ELj32ELb0EJPaPiS1_jEEvDpT3_, .Lfunc_end137-_Z6kernelI26subtract_left_partial_tileLj256ELj32ELb0EJPaPiS1_jEEvDpT3_
                                        ; -- End function
	.set _Z6kernelI26subtract_left_partial_tileLj256ELj32ELb0EJPaPiS1_jEEvDpT3_.num_vgpr, 93
	.set _Z6kernelI26subtract_left_partial_tileLj256ELj32ELb0EJPaPiS1_jEEvDpT3_.num_agpr, 0
	.set _Z6kernelI26subtract_left_partial_tileLj256ELj32ELb0EJPaPiS1_jEEvDpT3_.numbered_sgpr, 12
	.set _Z6kernelI26subtract_left_partial_tileLj256ELj32ELb0EJPaPiS1_jEEvDpT3_.num_named_barrier, 0
	.set _Z6kernelI26subtract_left_partial_tileLj256ELj32ELb0EJPaPiS1_jEEvDpT3_.private_seg_size, 0
	.set _Z6kernelI26subtract_left_partial_tileLj256ELj32ELb0EJPaPiS1_jEEvDpT3_.uses_vcc, 1
	.set _Z6kernelI26subtract_left_partial_tileLj256ELj32ELb0EJPaPiS1_jEEvDpT3_.uses_flat_scratch, 0
	.set _Z6kernelI26subtract_left_partial_tileLj256ELj32ELb0EJPaPiS1_jEEvDpT3_.has_dyn_sized_stack, 0
	.set _Z6kernelI26subtract_left_partial_tileLj256ELj32ELb0EJPaPiS1_jEEvDpT3_.has_recursion, 0
	.set _Z6kernelI26subtract_left_partial_tileLj256ELj32ELb0EJPaPiS1_jEEvDpT3_.has_indirect_call, 0
	.section	.AMDGPU.csdata,"",@progbits
; Kernel info:
; codeLenInByte = 3344
; TotalNumSgprs: 14
; NumVgprs: 93
; ScratchSize: 0
; MemoryBound: 0
; FloatMode: 240
; IeeeMode: 1
; LDSByteSize: 512 bytes/workgroup (compile time only)
; SGPRBlocks: 0
; VGPRBlocks: 11
; NumSGPRsForWavesPerEU: 14
; NumVGPRsForWavesPerEU: 93
; Occupancy: 16
; WaveLimiterHint : 1
; COMPUTE_PGM_RSRC2:SCRATCH_EN: 0
; COMPUTE_PGM_RSRC2:USER_SGPR: 2
; COMPUTE_PGM_RSRC2:TRAP_HANDLER: 0
; COMPUTE_PGM_RSRC2:TGID_X_EN: 1
; COMPUTE_PGM_RSRC2:TGID_Y_EN: 0
; COMPUTE_PGM_RSRC2:TGID_Z_EN: 0
; COMPUTE_PGM_RSRC2:TIDIG_COMP_CNT: 0
	.section	.text._Z6kernelI26subtract_left_partial_tileLj256ELj1ELb0EJPxPiS1_jEEvDpT3_,"axG",@progbits,_Z6kernelI26subtract_left_partial_tileLj256ELj1ELb0EJPxPiS1_jEEvDpT3_,comdat
	.protected	_Z6kernelI26subtract_left_partial_tileLj256ELj1ELb0EJPxPiS1_jEEvDpT3_ ; -- Begin function _Z6kernelI26subtract_left_partial_tileLj256ELj1ELb0EJPxPiS1_jEEvDpT3_
	.globl	_Z6kernelI26subtract_left_partial_tileLj256ELj1ELb0EJPxPiS1_jEEvDpT3_
	.p2align	8
	.type	_Z6kernelI26subtract_left_partial_tileLj256ELj1ELb0EJPxPiS1_jEEvDpT3_,@function
_Z6kernelI26subtract_left_partial_tileLj256ELj1ELb0EJPxPiS1_jEEvDpT3_: ; @_Z6kernelI26subtract_left_partial_tileLj256ELj1ELb0EJPxPiS1_jEEvDpT3_
; %bb.0:
	s_load_b128 s[8:11], s[0:1], 0x0
	s_lshl_b32 s6, ttmp9, 8
	s_mov_b32 s7, 0
	v_lshlrev_b32_e32 v5, 3, v0
	s_lshl_b64 s[4:5], s[6:7], 3
	s_load_b96 s[0:2], s[0:1], 0x10
	v_cmp_ne_u32_e32 vcc_lo, 0, v0
	s_delay_alu instid0(VALU_DEP_2)
	v_add_nc_u32_e32 v6, -8, v5
	s_wait_kmcnt 0x0
	s_add_nc_u64 s[8:9], s[8:9], s[4:5]
	global_load_b64 v[1:2], v5, s[8:9]
	s_cvt_f32_u32 s3, s2
	s_sub_co_i32 s6, 0, s2
	s_delay_alu instid0(SALU_CYCLE_2) | instskip(NEXT) | instid1(TRANS32_DEP_1)
	v_rcp_iflag_f32_e32 v3, s3
	v_readfirstlane_b32 s3, v3
	s_mul_f32 s3, s3, 0x4f7ffffe
	s_wait_alu 0xfffe
	s_delay_alu instid0(SALU_CYCLE_2) | instskip(SKIP_1) | instid1(SALU_CYCLE_2)
	s_cvt_u32_f32 s3, s3
	s_wait_alu 0xfffe
	s_mul_i32 s8, s6, s3
	s_mov_b32 s6, ttmp9
	s_mul_hi_u32 s8, s3, s8
	s_lshl_b64 s[6:7], s[6:7], 2
	s_add_co_i32 s8, s3, s8
	s_add_nc_u64 s[6:7], s[10:11], s[6:7]
	s_load_b32 s3, s[6:7], 0x0
	s_lshr_b32 s7, s8, 24
	s_delay_alu instid0(SALU_CYCLE_1)
	s_mul_i32 s6, s7, s2
	s_add_co_i32 s9, s7, 1
	s_sub_co_i32 s8, 0x100, s6
	s_mov_b32 s6, s0
	s_sub_co_i32 s10, s8, s2
	s_cmp_ge_u32 s8, s2
	s_cselect_b32 s0, s9, s7
	s_cselect_b32 s7, s10, s8
	s_add_co_i32 s8, s0, 1
	s_cmp_ge_u32 s7, s2
	s_mov_b32 s7, s1
	s_cselect_b32 s0, s8, s0
	s_delay_alu instid0(SALU_CYCLE_1)
	s_add_co_i32 s1, s0, 1
	s_branch .LBB138_2
.LBB138_1:                              ;   in Loop: Header=BB138_2 Depth=1
	s_or_b32 exec_lo, exec_lo, s8
	v_add_co_u32 v1, s0, v3, v1
	s_add_co_i32 s3, s1, s3
	v_add_co_ci_u32_e64 v2, null, v4, v2, s0
	s_add_co_i32 s2, s2, -1
	s_wait_alu 0xfffe
	s_and_b32 s3, s3, 0xff
	s_cmp_lg_u32 s2, 0
	s_wait_loadcnt 0x0
	s_barrier_signal -1
	s_barrier_wait -1
	global_inv scope:SCOPE_SE
	s_cbranch_scc0 .LBB138_4
.LBB138_2:                              ; =>This Inner Loop Header: Depth=1
	s_wait_kmcnt 0x0
	s_wait_alu 0xfffe
	v_cmp_gt_u32_e64 s0, s3, v0
	s_wait_loadcnt 0x0
	v_dual_mov_b32 v4, v2 :: v_dual_mov_b32 v3, v1
	ds_store_b64 v5, v[1:2]
	s_wait_dscnt 0x0
	s_and_b32 s0, vcc_lo, s0
	s_barrier_signal -1
	s_barrier_wait -1
	global_inv scope:SCOPE_SE
	s_wait_alu 0xfffe
	s_and_saveexec_b32 s8, s0
	s_cbranch_execz .LBB138_1
; %bb.3:                                ;   in Loop: Header=BB138_2 Depth=1
	ds_load_b64 v[3:4], v6
	s_wait_dscnt 0x0
	v_sub_co_u32 v3, s0, v1, v3
	s_wait_alu 0xf1ff
	v_sub_co_ci_u32_e64 v4, null, v2, v4, s0
	s_branch .LBB138_1
.LBB138_4:
	v_lshlrev_b32_e32 v0, 3, v0
	s_add_nc_u64 s[0:1], s[6:7], s[4:5]
	global_store_b64 v0, v[1:2], s[0:1]
	s_endpgm
	.section	.rodata,"a",@progbits
	.p2align	6, 0x0
	.amdhsa_kernel _Z6kernelI26subtract_left_partial_tileLj256ELj1ELb0EJPxPiS1_jEEvDpT3_
		.amdhsa_group_segment_fixed_size 4096
		.amdhsa_private_segment_fixed_size 0
		.amdhsa_kernarg_size 28
		.amdhsa_user_sgpr_count 2
		.amdhsa_user_sgpr_dispatch_ptr 0
		.amdhsa_user_sgpr_queue_ptr 0
		.amdhsa_user_sgpr_kernarg_segment_ptr 1
		.amdhsa_user_sgpr_dispatch_id 0
		.amdhsa_user_sgpr_private_segment_size 0
		.amdhsa_wavefront_size32 1
		.amdhsa_uses_dynamic_stack 0
		.amdhsa_enable_private_segment 0
		.amdhsa_system_sgpr_workgroup_id_x 1
		.amdhsa_system_sgpr_workgroup_id_y 0
		.amdhsa_system_sgpr_workgroup_id_z 0
		.amdhsa_system_sgpr_workgroup_info 0
		.amdhsa_system_vgpr_workitem_id 0
		.amdhsa_next_free_vgpr 7
		.amdhsa_next_free_sgpr 12
		.amdhsa_reserve_vcc 1
		.amdhsa_float_round_mode_32 0
		.amdhsa_float_round_mode_16_64 0
		.amdhsa_float_denorm_mode_32 3
		.amdhsa_float_denorm_mode_16_64 3
		.amdhsa_fp16_overflow 0
		.amdhsa_workgroup_processor_mode 1
		.amdhsa_memory_ordered 1
		.amdhsa_forward_progress 1
		.amdhsa_inst_pref_size 4
		.amdhsa_round_robin_scheduling 0
		.amdhsa_exception_fp_ieee_invalid_op 0
		.amdhsa_exception_fp_denorm_src 0
		.amdhsa_exception_fp_ieee_div_zero 0
		.amdhsa_exception_fp_ieee_overflow 0
		.amdhsa_exception_fp_ieee_underflow 0
		.amdhsa_exception_fp_ieee_inexact 0
		.amdhsa_exception_int_div_zero 0
	.end_amdhsa_kernel
	.section	.text._Z6kernelI26subtract_left_partial_tileLj256ELj1ELb0EJPxPiS1_jEEvDpT3_,"axG",@progbits,_Z6kernelI26subtract_left_partial_tileLj256ELj1ELb0EJPxPiS1_jEEvDpT3_,comdat
.Lfunc_end138:
	.size	_Z6kernelI26subtract_left_partial_tileLj256ELj1ELb0EJPxPiS1_jEEvDpT3_, .Lfunc_end138-_Z6kernelI26subtract_left_partial_tileLj256ELj1ELb0EJPxPiS1_jEEvDpT3_
                                        ; -- End function
	.set _Z6kernelI26subtract_left_partial_tileLj256ELj1ELb0EJPxPiS1_jEEvDpT3_.num_vgpr, 7
	.set _Z6kernelI26subtract_left_partial_tileLj256ELj1ELb0EJPxPiS1_jEEvDpT3_.num_agpr, 0
	.set _Z6kernelI26subtract_left_partial_tileLj256ELj1ELb0EJPxPiS1_jEEvDpT3_.numbered_sgpr, 12
	.set _Z6kernelI26subtract_left_partial_tileLj256ELj1ELb0EJPxPiS1_jEEvDpT3_.num_named_barrier, 0
	.set _Z6kernelI26subtract_left_partial_tileLj256ELj1ELb0EJPxPiS1_jEEvDpT3_.private_seg_size, 0
	.set _Z6kernelI26subtract_left_partial_tileLj256ELj1ELb0EJPxPiS1_jEEvDpT3_.uses_vcc, 1
	.set _Z6kernelI26subtract_left_partial_tileLj256ELj1ELb0EJPxPiS1_jEEvDpT3_.uses_flat_scratch, 0
	.set _Z6kernelI26subtract_left_partial_tileLj256ELj1ELb0EJPxPiS1_jEEvDpT3_.has_dyn_sized_stack, 0
	.set _Z6kernelI26subtract_left_partial_tileLj256ELj1ELb0EJPxPiS1_jEEvDpT3_.has_recursion, 0
	.set _Z6kernelI26subtract_left_partial_tileLj256ELj1ELb0EJPxPiS1_jEEvDpT3_.has_indirect_call, 0
	.section	.AMDGPU.csdata,"",@progbits
; Kernel info:
; codeLenInByte = 420
; TotalNumSgprs: 14
; NumVgprs: 7
; ScratchSize: 0
; MemoryBound: 0
; FloatMode: 240
; IeeeMode: 1
; LDSByteSize: 4096 bytes/workgroup (compile time only)
; SGPRBlocks: 0
; VGPRBlocks: 0
; NumSGPRsForWavesPerEU: 14
; NumVGPRsForWavesPerEU: 7
; Occupancy: 16
; WaveLimiterHint : 0
; COMPUTE_PGM_RSRC2:SCRATCH_EN: 0
; COMPUTE_PGM_RSRC2:USER_SGPR: 2
; COMPUTE_PGM_RSRC2:TRAP_HANDLER: 0
; COMPUTE_PGM_RSRC2:TGID_X_EN: 1
; COMPUTE_PGM_RSRC2:TGID_Y_EN: 0
; COMPUTE_PGM_RSRC2:TGID_Z_EN: 0
; COMPUTE_PGM_RSRC2:TIDIG_COMP_CNT: 0
	.section	.text._Z6kernelI26subtract_left_partial_tileLj256ELj3ELb0EJPxPiS1_jEEvDpT3_,"axG",@progbits,_Z6kernelI26subtract_left_partial_tileLj256ELj3ELb0EJPxPiS1_jEEvDpT3_,comdat
	.protected	_Z6kernelI26subtract_left_partial_tileLj256ELj3ELb0EJPxPiS1_jEEvDpT3_ ; -- Begin function _Z6kernelI26subtract_left_partial_tileLj256ELj3ELb0EJPxPiS1_jEEvDpT3_
	.globl	_Z6kernelI26subtract_left_partial_tileLj256ELj3ELb0EJPxPiS1_jEEvDpT3_
	.p2align	8
	.type	_Z6kernelI26subtract_left_partial_tileLj256ELj3ELb0EJPxPiS1_jEEvDpT3_,@function
_Z6kernelI26subtract_left_partial_tileLj256ELj3ELb0EJPxPiS1_jEEvDpT3_: ; @_Z6kernelI26subtract_left_partial_tileLj256ELj3ELb0EJPxPiS1_jEEvDpT3_
; %bb.0:
	s_load_b128 s[8:11], s[0:1], 0x0
	s_mul_i32 s6, ttmp9, 0x300
	s_mov_b32 s7, 0
	v_lshlrev_b32_e32 v9, 3, v0
	s_lshl_b64 s[4:5], s[6:7], 3
	s_load_b96 s[0:2], s[0:1], 0x10
	v_mul_u32_u24_e32 v10, 3, v0
	v_mad_u32_u24 v11, v0, 3, 2
	v_mad_u32_u24 v12, v0, 3, 1
	v_add_nc_u32_e32 v13, -8, v9
	v_cmp_ne_u32_e32 vcc_lo, 0, v0
	s_wait_kmcnt 0x0
	s_add_nc_u64 s[8:9], s[8:9], s[4:5]
	s_clause 0x2
	global_load_b64 v[1:2], v9, s[8:9]
	global_load_b64 v[3:4], v9, s[8:9] offset:2048
	global_load_b64 v[5:6], v9, s[8:9] offset:4096
	s_cvt_f32_u32 s3, s2
	s_sub_co_i32 s6, 0, s2
	s_delay_alu instid0(SALU_CYCLE_2) | instskip(NEXT) | instid1(TRANS32_DEP_1)
	v_rcp_iflag_f32_e32 v7, s3
	v_readfirstlane_b32 s3, v7
	s_mul_f32 s3, s3, 0x4f7ffffe
	s_wait_alu 0xfffe
	s_delay_alu instid0(SALU_CYCLE_2) | instskip(SKIP_1) | instid1(SALU_CYCLE_2)
	s_cvt_u32_f32 s3, s3
	s_wait_alu 0xfffe
	s_mul_i32 s6, s6, s3
	s_delay_alu instid0(SALU_CYCLE_1)
	s_mul_hi_u32 s8, s3, s6
	s_mov_b32 s6, ttmp9
	s_add_co_i32 s3, s3, s8
	s_lshl_b64 s[6:7], s[6:7], 2
	s_wait_alu 0xfffe
	s_mul_hi_u32 s8, s3, 0x300
	s_add_nc_u64 s[6:7], s[10:11], s[6:7]
	s_add_co_i32 s9, s8, 1
	s_load_b32 s3, s[6:7], 0x0
	s_mul_i32 s6, s8, s2
	s_delay_alu instid0(SALU_CYCLE_1)
	s_sub_co_i32 s7, 0x300, s6
	s_mov_b32 s6, s0
	s_sub_co_i32 s10, s7, s2
	s_cmp_ge_u32 s7, s2
	s_cselect_b32 s0, s9, s8
	s_cselect_b32 s7, s10, s7
	s_add_co_i32 s8, s0, 1
	s_cmp_ge_u32 s7, s2
	s_mov_b32 s7, s1
	s_cselect_b32 s8, s8, s0
	s_delay_alu instid0(SALU_CYCLE_1)
	s_add_co_i32 s8, s8, 1
	s_branch .LBB139_2
.LBB139_1:                              ;   in Loop: Header=BB139_2 Depth=1
	s_wait_alu 0xfffe
	s_or_b32 exec_lo, exec_lo, s1
	v_cmp_gt_u32_e64 s0, s3, v11
	v_cmp_gt_u32_e64 s1, s3, v12
	s_add_co_i32 s3, s8, s3
	s_add_co_i32 s2, s2, -1
	s_wait_loadcnt 0x0
	v_cndmask_b32_e64 v15, 0, v3, s0
	v_cndmask_b32_e64 v14, 0, v4, s0
	;; [unrolled: 1-line block ×4, first 2 shown]
	s_wait_alu 0xfffe
	s_mul_hi_u32 s1, s3, 0xaaaaaaab
	v_sub_co_u32 v15, s0, v5, v15
	s_wait_alu 0xf1ff
	v_sub_co_ci_u32_e64 v14, null, v6, v14, s0
	v_sub_co_u32 v17, s0, v3, v17
	s_wait_alu 0xf1ff
	v_sub_co_ci_u32_e64 v16, null, v4, v16, s0
	v_add_co_u32 v1, s0, v7, v1
	s_wait_alu 0xf1ff
	v_add_co_ci_u32_e64 v2, null, v8, v2, s0
	v_add_co_u32 v3, s0, v17, v3
	s_wait_alu 0xfffe
	s_lshr_b32 s1, s1, 9
	v_add_co_ci_u32_e64 v4, null, v16, v4, s0
	v_add_co_u32 v5, s0, v15, v5
	s_wait_alu 0xfffe
	s_mulk_i32 s1, 0x300
	v_add_co_ci_u32_e64 v6, null, v14, v6, s0
	s_wait_alu 0xfffe
	s_sub_co_i32 s3, s3, s1
	s_cmp_lg_u32 s2, 0
	s_barrier_signal -1
	s_barrier_wait -1
	global_inv scope:SCOPE_SE
	s_cbranch_scc0 .LBB139_4
.LBB139_2:                              ; =>This Inner Loop Header: Depth=1
	s_wait_kmcnt 0x0
	s_wait_alu 0xfffe
	v_cmp_gt_u32_e64 s0, s3, v10
	s_wait_loadcnt 0x2
	v_dual_mov_b32 v8, v2 :: v_dual_mov_b32 v7, v1
	s_wait_loadcnt 0x0
	ds_store_b64 v9, v[5:6]
	s_wait_dscnt 0x0
	s_and_b32 s0, vcc_lo, s0
	s_barrier_signal -1
	s_barrier_wait -1
	global_inv scope:SCOPE_SE
	s_wait_alu 0xfffe
	s_and_saveexec_b32 s1, s0
	s_cbranch_execz .LBB139_1
; %bb.3:                                ;   in Loop: Header=BB139_2 Depth=1
	ds_load_b64 v[7:8], v13
	s_wait_dscnt 0x0
	v_sub_co_u32 v7, s0, v1, v7
	s_wait_alu 0xf1ff
	v_sub_co_ci_u32_e64 v8, null, v2, v8, s0
	s_branch .LBB139_1
.LBB139_4:
	v_lshlrev_b32_e32 v0, 3, v0
	s_add_nc_u64 s[0:1], s[6:7], s[4:5]
	s_clause 0x2
	global_store_b64 v0, v[1:2], s[0:1]
	global_store_b64 v0, v[3:4], s[0:1] offset:2048
	global_store_b64 v0, v[5:6], s[0:1] offset:4096
	s_endpgm
	.section	.rodata,"a",@progbits
	.p2align	6, 0x0
	.amdhsa_kernel _Z6kernelI26subtract_left_partial_tileLj256ELj3ELb0EJPxPiS1_jEEvDpT3_
		.amdhsa_group_segment_fixed_size 4096
		.amdhsa_private_segment_fixed_size 0
		.amdhsa_kernarg_size 28
		.amdhsa_user_sgpr_count 2
		.amdhsa_user_sgpr_dispatch_ptr 0
		.amdhsa_user_sgpr_queue_ptr 0
		.amdhsa_user_sgpr_kernarg_segment_ptr 1
		.amdhsa_user_sgpr_dispatch_id 0
		.amdhsa_user_sgpr_private_segment_size 0
		.amdhsa_wavefront_size32 1
		.amdhsa_uses_dynamic_stack 0
		.amdhsa_enable_private_segment 0
		.amdhsa_system_sgpr_workgroup_id_x 1
		.amdhsa_system_sgpr_workgroup_id_y 0
		.amdhsa_system_sgpr_workgroup_id_z 0
		.amdhsa_system_sgpr_workgroup_info 0
		.amdhsa_system_vgpr_workitem_id 0
		.amdhsa_next_free_vgpr 18
		.amdhsa_next_free_sgpr 12
		.amdhsa_reserve_vcc 1
		.amdhsa_float_round_mode_32 0
		.amdhsa_float_round_mode_16_64 0
		.amdhsa_float_denorm_mode_32 3
		.amdhsa_float_denorm_mode_16_64 3
		.amdhsa_fp16_overflow 0
		.amdhsa_workgroup_processor_mode 1
		.amdhsa_memory_ordered 1
		.amdhsa_forward_progress 1
		.amdhsa_inst_pref_size 6
		.amdhsa_round_robin_scheduling 0
		.amdhsa_exception_fp_ieee_invalid_op 0
		.amdhsa_exception_fp_denorm_src 0
		.amdhsa_exception_fp_ieee_div_zero 0
		.amdhsa_exception_fp_ieee_overflow 0
		.amdhsa_exception_fp_ieee_underflow 0
		.amdhsa_exception_fp_ieee_inexact 0
		.amdhsa_exception_int_div_zero 0
	.end_amdhsa_kernel
	.section	.text._Z6kernelI26subtract_left_partial_tileLj256ELj3ELb0EJPxPiS1_jEEvDpT3_,"axG",@progbits,_Z6kernelI26subtract_left_partial_tileLj256ELj3ELb0EJPxPiS1_jEEvDpT3_,comdat
.Lfunc_end139:
	.size	_Z6kernelI26subtract_left_partial_tileLj256ELj3ELb0EJPxPiS1_jEEvDpT3_, .Lfunc_end139-_Z6kernelI26subtract_left_partial_tileLj256ELj3ELb0EJPxPiS1_jEEvDpT3_
                                        ; -- End function
	.set _Z6kernelI26subtract_left_partial_tileLj256ELj3ELb0EJPxPiS1_jEEvDpT3_.num_vgpr, 18
	.set _Z6kernelI26subtract_left_partial_tileLj256ELj3ELb0EJPxPiS1_jEEvDpT3_.num_agpr, 0
	.set _Z6kernelI26subtract_left_partial_tileLj256ELj3ELb0EJPxPiS1_jEEvDpT3_.numbered_sgpr, 12
	.set _Z6kernelI26subtract_left_partial_tileLj256ELj3ELb0EJPxPiS1_jEEvDpT3_.num_named_barrier, 0
	.set _Z6kernelI26subtract_left_partial_tileLj256ELj3ELb0EJPxPiS1_jEEvDpT3_.private_seg_size, 0
	.set _Z6kernelI26subtract_left_partial_tileLj256ELj3ELb0EJPxPiS1_jEEvDpT3_.uses_vcc, 1
	.set _Z6kernelI26subtract_left_partial_tileLj256ELj3ELb0EJPxPiS1_jEEvDpT3_.uses_flat_scratch, 0
	.set _Z6kernelI26subtract_left_partial_tileLj256ELj3ELb0EJPxPiS1_jEEvDpT3_.has_dyn_sized_stack, 0
	.set _Z6kernelI26subtract_left_partial_tileLj256ELj3ELb0EJPxPiS1_jEEvDpT3_.has_recursion, 0
	.set _Z6kernelI26subtract_left_partial_tileLj256ELj3ELb0EJPxPiS1_jEEvDpT3_.has_indirect_call, 0
	.section	.AMDGPU.csdata,"",@progbits
; Kernel info:
; codeLenInByte = 664
; TotalNumSgprs: 14
; NumVgprs: 18
; ScratchSize: 0
; MemoryBound: 0
; FloatMode: 240
; IeeeMode: 1
; LDSByteSize: 4096 bytes/workgroup (compile time only)
; SGPRBlocks: 0
; VGPRBlocks: 2
; NumSGPRsForWavesPerEU: 14
; NumVGPRsForWavesPerEU: 18
; Occupancy: 16
; WaveLimiterHint : 1
; COMPUTE_PGM_RSRC2:SCRATCH_EN: 0
; COMPUTE_PGM_RSRC2:USER_SGPR: 2
; COMPUTE_PGM_RSRC2:TRAP_HANDLER: 0
; COMPUTE_PGM_RSRC2:TGID_X_EN: 1
; COMPUTE_PGM_RSRC2:TGID_Y_EN: 0
; COMPUTE_PGM_RSRC2:TGID_Z_EN: 0
; COMPUTE_PGM_RSRC2:TIDIG_COMP_CNT: 0
	.section	.text._Z6kernelI26subtract_left_partial_tileLj256ELj4ELb0EJPxPiS1_jEEvDpT3_,"axG",@progbits,_Z6kernelI26subtract_left_partial_tileLj256ELj4ELb0EJPxPiS1_jEEvDpT3_,comdat
	.protected	_Z6kernelI26subtract_left_partial_tileLj256ELj4ELb0EJPxPiS1_jEEvDpT3_ ; -- Begin function _Z6kernelI26subtract_left_partial_tileLj256ELj4ELb0EJPxPiS1_jEEvDpT3_
	.globl	_Z6kernelI26subtract_left_partial_tileLj256ELj4ELb0EJPxPiS1_jEEvDpT3_
	.p2align	8
	.type	_Z6kernelI26subtract_left_partial_tileLj256ELj4ELb0EJPxPiS1_jEEvDpT3_,@function
_Z6kernelI26subtract_left_partial_tileLj256ELj4ELb0EJPxPiS1_jEEvDpT3_: ; @_Z6kernelI26subtract_left_partial_tileLj256ELj4ELb0EJPxPiS1_jEEvDpT3_
; %bb.0:
	s_load_b128 s[8:11], s[0:1], 0x0
	s_lshl_b32 s6, ttmp9, 10
	s_mov_b32 s7, 0
	v_lshlrev_b32_e32 v11, 3, v0
	s_lshl_b64 s[4:5], s[6:7], 3
	s_load_b96 s[0:2], s[0:1], 0x10
	v_lshlrev_b32_e32 v12, 2, v0
	v_cmp_ne_u32_e32 vcc_lo, 0, v0
	v_add_nc_u32_e32 v16, -8, v11
	s_delay_alu instid0(VALU_DEP_3)
	v_or_b32_e32 v13, 3, v12
	v_or_b32_e32 v14, 2, v12
	;; [unrolled: 1-line block ×3, first 2 shown]
	s_wait_kmcnt 0x0
	s_add_nc_u64 s[8:9], s[8:9], s[4:5]
	s_clause 0x3
	global_load_b64 v[1:2], v11, s[8:9]
	global_load_b64 v[3:4], v11, s[8:9] offset:2048
	global_load_b64 v[5:6], v11, s[8:9] offset:4096
	;; [unrolled: 1-line block ×3, first 2 shown]
	s_cvt_f32_u32 s3, s2
	s_sub_co_i32 s6, 0, s2
	s_delay_alu instid0(SALU_CYCLE_2) | instskip(NEXT) | instid1(TRANS32_DEP_1)
	v_rcp_iflag_f32_e32 v9, s3
	v_readfirstlane_b32 s3, v9
	s_mul_f32 s3, s3, 0x4f7ffffe
	s_wait_alu 0xfffe
	s_delay_alu instid0(SALU_CYCLE_2) | instskip(SKIP_1) | instid1(SALU_CYCLE_2)
	s_cvt_u32_f32 s3, s3
	s_wait_alu 0xfffe
	s_mul_i32 s6, s6, s3
	s_delay_alu instid0(SALU_CYCLE_1)
	s_mul_hi_u32 s8, s3, s6
	s_mov_b32 s6, ttmp9
	s_add_co_i32 s3, s3, s8
	s_lshl_b64 s[6:7], s[6:7], 2
	s_wait_alu 0xfffe
	s_lshr_b32 s8, s3, 22
	s_add_nc_u64 s[6:7], s[10:11], s[6:7]
	s_load_b32 s3, s[6:7], 0x0
	s_mul_i32 s7, s8, s2
	s_mov_b32 s6, s0
	s_sub_co_i32 s0, 0x400, s7
	s_add_co_i32 s7, s8, 1
	s_sub_co_i32 s9, s0, s2
	s_cmp_ge_u32 s0, s2
	s_cselect_b32 s7, s7, s8
	s_cselect_b32 s0, s9, s0
	s_add_co_i32 s8, s7, 1
	s_cmp_ge_u32 s0, s2
	s_cselect_b32 s8, s8, s7
	s_mov_b32 s7, s1
	s_add_co_i32 s8, s8, 1
	s_branch .LBB140_2
.LBB140_1:                              ;   in Loop: Header=BB140_2 Depth=1
	s_wait_alu 0xfffe
	s_or_b32 exec_lo, exec_lo, s1
	v_cmp_gt_u32_e64 s0, s3, v13
	v_cmp_gt_u32_e64 s1, s3, v14
	s_add_co_i32 s2, s2, -1
	s_wait_loadcnt 0x0
	s_barrier_signal -1
	v_cndmask_b32_e64 v17, 0, v6, s0
	v_cndmask_b32_e64 v18, 0, v5, s0
	v_cmp_gt_u32_e64 s0, s3, v15
	v_cndmask_b32_e64 v20, 0, v3, s1
	v_cndmask_b32_e64 v19, 0, v4, s1
	s_barrier_wait -1
	v_sub_co_u32 v18, s1, v7, v18
	s_wait_alu 0xf1ff
	v_cndmask_b32_e64 v22, 0, v1, s0
	v_cndmask_b32_e64 v21, 0, v2, s0
	v_sub_co_u32 v20, s0, v5, v20
	s_wait_alu 0xf1ff
	v_sub_co_ci_u32_e64 v19, null, v6, v19, s0
	v_sub_co_u32 v22, s0, v3, v22
	s_wait_alu 0xf1ff
	v_sub_co_ci_u32_e64 v21, null, v4, v21, s0
	v_add_co_u32 v1, s0, v9, v1
	s_wait_alu 0xf1ff
	v_add_co_ci_u32_e64 v2, null, v10, v2, s0
	v_add_co_u32 v3, s0, v22, v3
	v_sub_co_ci_u32_e64 v17, null, v8, v17, s1
	s_wait_alu 0xf1ff
	v_add_co_ci_u32_e64 v4, null, v21, v4, s0
	v_add_co_u32 v5, s0, v20, v5
	s_wait_alu 0xf1ff
	v_add_co_ci_u32_e64 v6, null, v19, v6, s0
	v_add_co_u32 v7, s0, v18, v7
	s_add_co_i32 s1, s8, s3
	v_add_co_ci_u32_e64 v8, null, v17, v8, s0
	s_wait_alu 0xfffe
	s_and_b32 s3, s1, 0x3ff
	s_cmp_lg_u32 s2, 0
	global_inv scope:SCOPE_SE
	s_cbranch_scc0 .LBB140_4
.LBB140_2:                              ; =>This Inner Loop Header: Depth=1
	s_wait_kmcnt 0x0
	s_wait_alu 0xfffe
	v_cmp_gt_u32_e64 s0, s3, v12
	s_wait_loadcnt 0x3
	v_dual_mov_b32 v10, v2 :: v_dual_mov_b32 v9, v1
	s_wait_loadcnt 0x0
	ds_store_b64 v11, v[7:8]
	s_wait_dscnt 0x0
	s_and_b32 s0, vcc_lo, s0
	s_barrier_signal -1
	s_barrier_wait -1
	global_inv scope:SCOPE_SE
	s_wait_alu 0xfffe
	s_and_saveexec_b32 s1, s0
	s_cbranch_execz .LBB140_1
; %bb.3:                                ;   in Loop: Header=BB140_2 Depth=1
	ds_load_b64 v[9:10], v16
	s_wait_dscnt 0x0
	v_sub_co_u32 v9, s0, v1, v9
	s_wait_alu 0xf1ff
	v_sub_co_ci_u32_e64 v10, null, v2, v10, s0
	s_branch .LBB140_1
.LBB140_4:
	v_lshlrev_b32_e32 v0, 3, v0
	s_add_nc_u64 s[0:1], s[6:7], s[4:5]
	s_clause 0x3
	global_store_b64 v0, v[1:2], s[0:1]
	global_store_b64 v0, v[3:4], s[0:1] offset:2048
	global_store_b64 v0, v[5:6], s[0:1] offset:4096
	;; [unrolled: 1-line block ×3, first 2 shown]
	s_endpgm
	.section	.rodata,"a",@progbits
	.p2align	6, 0x0
	.amdhsa_kernel _Z6kernelI26subtract_left_partial_tileLj256ELj4ELb0EJPxPiS1_jEEvDpT3_
		.amdhsa_group_segment_fixed_size 4096
		.amdhsa_private_segment_fixed_size 0
		.amdhsa_kernarg_size 28
		.amdhsa_user_sgpr_count 2
		.amdhsa_user_sgpr_dispatch_ptr 0
		.amdhsa_user_sgpr_queue_ptr 0
		.amdhsa_user_sgpr_kernarg_segment_ptr 1
		.amdhsa_user_sgpr_dispatch_id 0
		.amdhsa_user_sgpr_private_segment_size 0
		.amdhsa_wavefront_size32 1
		.amdhsa_uses_dynamic_stack 0
		.amdhsa_enable_private_segment 0
		.amdhsa_system_sgpr_workgroup_id_x 1
		.amdhsa_system_sgpr_workgroup_id_y 0
		.amdhsa_system_sgpr_workgroup_id_z 0
		.amdhsa_system_sgpr_workgroup_info 0
		.amdhsa_system_vgpr_workitem_id 0
		.amdhsa_next_free_vgpr 23
		.amdhsa_next_free_sgpr 12
		.amdhsa_reserve_vcc 1
		.amdhsa_float_round_mode_32 0
		.amdhsa_float_round_mode_16_64 0
		.amdhsa_float_denorm_mode_32 3
		.amdhsa_float_denorm_mode_16_64 3
		.amdhsa_fp16_overflow 0
		.amdhsa_workgroup_processor_mode 1
		.amdhsa_memory_ordered 1
		.amdhsa_forward_progress 1
		.amdhsa_inst_pref_size 6
		.amdhsa_round_robin_scheduling 0
		.amdhsa_exception_fp_ieee_invalid_op 0
		.amdhsa_exception_fp_denorm_src 0
		.amdhsa_exception_fp_ieee_div_zero 0
		.amdhsa_exception_fp_ieee_overflow 0
		.amdhsa_exception_fp_ieee_underflow 0
		.amdhsa_exception_fp_ieee_inexact 0
		.amdhsa_exception_int_div_zero 0
	.end_amdhsa_kernel
	.section	.text._Z6kernelI26subtract_left_partial_tileLj256ELj4ELb0EJPxPiS1_jEEvDpT3_,"axG",@progbits,_Z6kernelI26subtract_left_partial_tileLj256ELj4ELb0EJPxPiS1_jEEvDpT3_,comdat
.Lfunc_end140:
	.size	_Z6kernelI26subtract_left_partial_tileLj256ELj4ELb0EJPxPiS1_jEEvDpT3_, .Lfunc_end140-_Z6kernelI26subtract_left_partial_tileLj256ELj4ELb0EJPxPiS1_jEEvDpT3_
                                        ; -- End function
	.set _Z6kernelI26subtract_left_partial_tileLj256ELj4ELb0EJPxPiS1_jEEvDpT3_.num_vgpr, 23
	.set _Z6kernelI26subtract_left_partial_tileLj256ELj4ELb0EJPxPiS1_jEEvDpT3_.num_agpr, 0
	.set _Z6kernelI26subtract_left_partial_tileLj256ELj4ELb0EJPxPiS1_jEEvDpT3_.numbered_sgpr, 12
	.set _Z6kernelI26subtract_left_partial_tileLj256ELj4ELb0EJPxPiS1_jEEvDpT3_.num_named_barrier, 0
	.set _Z6kernelI26subtract_left_partial_tileLj256ELj4ELb0EJPxPiS1_jEEvDpT3_.private_seg_size, 0
	.set _Z6kernelI26subtract_left_partial_tileLj256ELj4ELb0EJPxPiS1_jEEvDpT3_.uses_vcc, 1
	.set _Z6kernelI26subtract_left_partial_tileLj256ELj4ELb0EJPxPiS1_jEEvDpT3_.uses_flat_scratch, 0
	.set _Z6kernelI26subtract_left_partial_tileLj256ELj4ELb0EJPxPiS1_jEEvDpT3_.has_dyn_sized_stack, 0
	.set _Z6kernelI26subtract_left_partial_tileLj256ELj4ELb0EJPxPiS1_jEEvDpT3_.has_recursion, 0
	.set _Z6kernelI26subtract_left_partial_tileLj256ELj4ELb0EJPxPiS1_jEEvDpT3_.has_indirect_call, 0
	.section	.AMDGPU.csdata,"",@progbits
; Kernel info:
; codeLenInByte = 716
; TotalNumSgprs: 14
; NumVgprs: 23
; ScratchSize: 0
; MemoryBound: 0
; FloatMode: 240
; IeeeMode: 1
; LDSByteSize: 4096 bytes/workgroup (compile time only)
; SGPRBlocks: 0
; VGPRBlocks: 2
; NumSGPRsForWavesPerEU: 14
; NumVGPRsForWavesPerEU: 23
; Occupancy: 16
; WaveLimiterHint : 1
; COMPUTE_PGM_RSRC2:SCRATCH_EN: 0
; COMPUTE_PGM_RSRC2:USER_SGPR: 2
; COMPUTE_PGM_RSRC2:TRAP_HANDLER: 0
; COMPUTE_PGM_RSRC2:TGID_X_EN: 1
; COMPUTE_PGM_RSRC2:TGID_Y_EN: 0
; COMPUTE_PGM_RSRC2:TGID_Z_EN: 0
; COMPUTE_PGM_RSRC2:TIDIG_COMP_CNT: 0
	.section	.text._Z6kernelI26subtract_left_partial_tileLj256ELj8ELb0EJPxPiS1_jEEvDpT3_,"axG",@progbits,_Z6kernelI26subtract_left_partial_tileLj256ELj8ELb0EJPxPiS1_jEEvDpT3_,comdat
	.protected	_Z6kernelI26subtract_left_partial_tileLj256ELj8ELb0EJPxPiS1_jEEvDpT3_ ; -- Begin function _Z6kernelI26subtract_left_partial_tileLj256ELj8ELb0EJPxPiS1_jEEvDpT3_
	.globl	_Z6kernelI26subtract_left_partial_tileLj256ELj8ELb0EJPxPiS1_jEEvDpT3_
	.p2align	8
	.type	_Z6kernelI26subtract_left_partial_tileLj256ELj8ELb0EJPxPiS1_jEEvDpT3_,@function
_Z6kernelI26subtract_left_partial_tileLj256ELj8ELb0EJPxPiS1_jEEvDpT3_: ; @_Z6kernelI26subtract_left_partial_tileLj256ELj8ELb0EJPxPiS1_jEEvDpT3_
; %bb.0:
	s_clause 0x1
	s_load_b128 s[12:15], s[0:1], 0x0
	s_load_b96 s[4:6], s[0:1], 0x10
	s_lshl_b32 s2, ttmp9, 11
	s_mov_b32 s3, 0
	v_lshlrev_b32_e32 v19, 3, v0
	s_lshl_b64 s[8:9], s[2:3], 3
	s_mov_b32 s2, ttmp9
	v_cmp_ne_u32_e32 vcc_lo, 0, v0
	s_delay_alu instid0(VALU_DEP_2)
	v_or_b32_e32 v20, 7, v19
	v_or_b32_e32 v21, 6, v19
	;; [unrolled: 1-line block ×7, first 2 shown]
	v_add_nc_u32_e32 v27, -8, v19
	s_wait_kmcnt 0x0
	s_add_nc_u64 s[0:1], s[12:13], s[8:9]
	s_clause 0x7
	global_load_b64 v[15:16], v19, s[0:1]
	global_load_b64 v[13:14], v19, s[0:1] offset:2048
	global_load_b64 v[11:12], v19, s[0:1] offset:4096
	;; [unrolled: 1-line block ×7, first 2 shown]
	s_cvt_f32_u32 s0, s6
	s_sub_co_i32 s1, 0, s6
	s_delay_alu instid0(SALU_CYCLE_2) | instskip(NEXT) | instid1(TRANS32_DEP_1)
	v_rcp_iflag_f32_e32 v17, s0
	v_readfirstlane_b32 s0, v17
	s_mul_f32 s0, s0, 0x4f7ffffe
	s_wait_alu 0xfffe
	s_delay_alu instid0(SALU_CYCLE_2) | instskip(SKIP_1) | instid1(SALU_CYCLE_2)
	s_cvt_u32_f32 s0, s0
	s_wait_alu 0xfffe
	s_mul_i32 s1, s1, s0
	s_wait_alu 0xfffe
	s_mul_hi_u32 s1, s0, s1
	s_wait_alu 0xfffe
	s_add_co_i32 s7, s0, s1
	s_lshl_b64 s[0:1], s[2:3], 2
	s_lshr_b32 s2, s7, 21
	s_wait_alu 0xfffe
	s_add_nc_u64 s[0:1], s[14:15], s[0:1]
	s_mul_i32 s7, s2, s6
	s_load_b32 s3, s[0:1], 0x0
	s_sub_co_i32 s0, 0x800, s7
	s_add_co_i32 s1, s2, 1
	s_wait_alu 0xfffe
	s_sub_co_i32 s7, s0, s6
	s_cmp_ge_u32 s0, s6
	s_cselect_b32 s1, s1, s2
	s_cselect_b32 s0, s7, s0
	s_wait_alu 0xfffe
	s_add_co_i32 s2, s1, 1
	s_cmp_ge_u32 s0, s6
	s_cselect_b32 s7, s2, s1
	s_delay_alu instid0(SALU_CYCLE_1)
	s_add_co_i32 s7, s7, 1
	s_branch .LBB141_2
.LBB141_1:                              ;   in Loop: Header=BB141_2 Depth=1
	s_wait_alu 0xfffe
	s_or_b32 exec_lo, exec_lo, s1
	v_cmp_gt_u32_e64 s0, s3, v20
	v_cmp_gt_u32_e64 s1, s3, v21
	s_add_co_i32 s6, s6, -1
	s_wait_loadcnt 0x0
	s_barrier_signal -1
	s_wait_alu 0xf1ff
	v_cndmask_b32_e64 v28, 0, v4, s0
	v_cndmask_b32_e64 v29, 0, v3, s0
	v_cmp_gt_u32_e64 s0, s3, v22
	v_cndmask_b32_e64 v31, 0, v5, s1
	v_cndmask_b32_e64 v30, 0, v6, s1
	s_barrier_wait -1
	v_sub_co_u32 v29, s1, v1, v29
	s_wait_alu 0xf1ff
	v_cndmask_b32_e64 v32, 0, v8, s0
	v_cndmask_b32_e64 v33, 0, v7, s0
	v_cmp_gt_u32_e64 s0, s3, v23
	v_sub_co_ci_u32_e64 v28, null, v2, v28, s1
	v_sub_co_u32 v31, s1, v3, v31
	s_wait_alu 0xf1ff
	s_delay_alu instid0(VALU_DEP_3)
	v_cndmask_b32_e64 v34, 0, v10, s0
	v_cndmask_b32_e64 v35, 0, v9, s0
	v_sub_co_u32 v33, s0, v5, v33
	s_wait_alu 0xf1ff
	v_sub_co_ci_u32_e64 v32, null, v6, v32, s0
	v_cmp_gt_u32_e64 s0, s3, v24
	v_sub_co_ci_u32_e64 v30, null, v4, v30, s1
	v_cmp_gt_u32_e64 s1, s3, v25
	v_sub_co_u32 v35, s2, v7, v35
	s_wait_alu 0xf1ff
	v_cndmask_b32_e64 v36, 0, v12, s0
	v_cndmask_b32_e64 v37, 0, v11, s0
	v_cmp_gt_u32_e64 s0, s3, v26
	v_cndmask_b32_e64 v39, 0, v13, s1
	v_cndmask_b32_e64 v38, 0, v14, s1
	v_sub_co_ci_u32_e64 v34, null, v8, v34, s2
	s_wait_alu 0xf1ff
	v_cndmask_b32_e64 v41, 0, v15, s0
	v_cndmask_b32_e64 v40, 0, v16, s0
	v_sub_co_u32 v39, s0, v11, v39
	s_wait_alu 0xf1ff
	v_sub_co_ci_u32_e64 v38, null, v12, v38, s0
	v_sub_co_u32 v41, s0, v13, v41
	s_wait_alu 0xf1ff
	v_sub_co_ci_u32_e64 v40, null, v14, v40, s0
	v_add_co_u32 v15, s0, v17, v15
	v_sub_co_u32 v37, s1, v9, v37
	s_wait_alu 0xf1ff
	v_add_co_ci_u32_e64 v16, null, v18, v16, s0
	v_add_co_u32 v13, s0, v41, v13
	v_sub_co_ci_u32_e64 v36, null, v10, v36, s1
	s_wait_alu 0xf1ff
	v_add_co_ci_u32_e64 v14, null, v40, v14, s0
	v_add_co_u32 v11, s0, v39, v11
	s_wait_alu 0xf1ff
	v_add_co_ci_u32_e64 v12, null, v38, v12, s0
	v_add_co_u32 v9, s0, v37, v9
	;; [unrolled: 3-line block ×6, first 2 shown]
	s_add_co_i32 s1, s7, s3
	v_add_co_ci_u32_e64 v2, null, v28, v2, s0
	s_wait_alu 0xfffe
	s_and_b32 s3, s1, 0x7ff
	s_cmp_lg_u32 s6, 0
	global_inv scope:SCOPE_SE
	s_cbranch_scc0 .LBB141_4
.LBB141_2:                              ; =>This Inner Loop Header: Depth=1
	s_wait_kmcnt 0x0
	s_wait_alu 0xfffe
	v_cmp_gt_u32_e64 s0, s3, v19
	s_wait_loadcnt 0x7
	v_dual_mov_b32 v18, v16 :: v_dual_mov_b32 v17, v15
	s_wait_loadcnt 0x0
	ds_store_b64 v19, v[1:2]
	s_wait_dscnt 0x0
	s_and_b32 s0, vcc_lo, s0
	s_barrier_signal -1
	s_barrier_wait -1
	global_inv scope:SCOPE_SE
	s_wait_alu 0xfffe
	s_and_saveexec_b32 s1, s0
	s_cbranch_execz .LBB141_1
; %bb.3:                                ;   in Loop: Header=BB141_2 Depth=1
	ds_load_b64 v[17:18], v27
	s_wait_dscnt 0x0
	v_sub_co_u32 v17, s0, v15, v17
	s_wait_alu 0xf1ff
	v_sub_co_ci_u32_e64 v18, null, v16, v18, s0
	s_branch .LBB141_1
.LBB141_4:
	v_lshlrev_b32_e32 v0, 3, v0
	s_add_nc_u64 s[0:1], s[4:5], s[8:9]
	s_clause 0x7
	global_store_b64 v0, v[15:16], s[0:1]
	global_store_b64 v0, v[13:14], s[0:1] offset:2048
	global_store_b64 v0, v[11:12], s[0:1] offset:4096
	;; [unrolled: 1-line block ×7, first 2 shown]
	s_endpgm
	.section	.rodata,"a",@progbits
	.p2align	6, 0x0
	.amdhsa_kernel _Z6kernelI26subtract_left_partial_tileLj256ELj8ELb0EJPxPiS1_jEEvDpT3_
		.amdhsa_group_segment_fixed_size 4096
		.amdhsa_private_segment_fixed_size 0
		.amdhsa_kernarg_size 28
		.amdhsa_user_sgpr_count 2
		.amdhsa_user_sgpr_dispatch_ptr 0
		.amdhsa_user_sgpr_queue_ptr 0
		.amdhsa_user_sgpr_kernarg_segment_ptr 1
		.amdhsa_user_sgpr_dispatch_id 0
		.amdhsa_user_sgpr_private_segment_size 0
		.amdhsa_wavefront_size32 1
		.amdhsa_uses_dynamic_stack 0
		.amdhsa_enable_private_segment 0
		.amdhsa_system_sgpr_workgroup_id_x 1
		.amdhsa_system_sgpr_workgroup_id_y 0
		.amdhsa_system_sgpr_workgroup_id_z 0
		.amdhsa_system_sgpr_workgroup_info 0
		.amdhsa_system_vgpr_workitem_id 0
		.amdhsa_next_free_vgpr 42
		.amdhsa_next_free_sgpr 16
		.amdhsa_reserve_vcc 1
		.amdhsa_float_round_mode_32 0
		.amdhsa_float_round_mode_16_64 0
		.amdhsa_float_denorm_mode_32 3
		.amdhsa_float_denorm_mode_16_64 3
		.amdhsa_fp16_overflow 0
		.amdhsa_workgroup_processor_mode 1
		.amdhsa_memory_ordered 1
		.amdhsa_forward_progress 1
		.amdhsa_inst_pref_size 9
		.amdhsa_round_robin_scheduling 0
		.amdhsa_exception_fp_ieee_invalid_op 0
		.amdhsa_exception_fp_denorm_src 0
		.amdhsa_exception_fp_ieee_div_zero 0
		.amdhsa_exception_fp_ieee_overflow 0
		.amdhsa_exception_fp_ieee_underflow 0
		.amdhsa_exception_fp_ieee_inexact 0
		.amdhsa_exception_int_div_zero 0
	.end_amdhsa_kernel
	.section	.text._Z6kernelI26subtract_left_partial_tileLj256ELj8ELb0EJPxPiS1_jEEvDpT3_,"axG",@progbits,_Z6kernelI26subtract_left_partial_tileLj256ELj8ELb0EJPxPiS1_jEEvDpT3_,comdat
.Lfunc_end141:
	.size	_Z6kernelI26subtract_left_partial_tileLj256ELj8ELb0EJPxPiS1_jEEvDpT3_, .Lfunc_end141-_Z6kernelI26subtract_left_partial_tileLj256ELj8ELb0EJPxPiS1_jEEvDpT3_
                                        ; -- End function
	.set _Z6kernelI26subtract_left_partial_tileLj256ELj8ELb0EJPxPiS1_jEEvDpT3_.num_vgpr, 42
	.set _Z6kernelI26subtract_left_partial_tileLj256ELj8ELb0EJPxPiS1_jEEvDpT3_.num_agpr, 0
	.set _Z6kernelI26subtract_left_partial_tileLj256ELj8ELb0EJPxPiS1_jEEvDpT3_.numbered_sgpr, 16
	.set _Z6kernelI26subtract_left_partial_tileLj256ELj8ELb0EJPxPiS1_jEEvDpT3_.num_named_barrier, 0
	.set _Z6kernelI26subtract_left_partial_tileLj256ELj8ELb0EJPxPiS1_jEEvDpT3_.private_seg_size, 0
	.set _Z6kernelI26subtract_left_partial_tileLj256ELj8ELb0EJPxPiS1_jEEvDpT3_.uses_vcc, 1
	.set _Z6kernelI26subtract_left_partial_tileLj256ELj8ELb0EJPxPiS1_jEEvDpT3_.uses_flat_scratch, 0
	.set _Z6kernelI26subtract_left_partial_tileLj256ELj8ELb0EJPxPiS1_jEEvDpT3_.has_dyn_sized_stack, 0
	.set _Z6kernelI26subtract_left_partial_tileLj256ELj8ELb0EJPxPiS1_jEEvDpT3_.has_recursion, 0
	.set _Z6kernelI26subtract_left_partial_tileLj256ELj8ELb0EJPxPiS1_jEEvDpT3_.has_indirect_call, 0
	.section	.AMDGPU.csdata,"",@progbits
; Kernel info:
; codeLenInByte = 1100
; TotalNumSgprs: 18
; NumVgprs: 42
; ScratchSize: 0
; MemoryBound: 0
; FloatMode: 240
; IeeeMode: 1
; LDSByteSize: 4096 bytes/workgroup (compile time only)
; SGPRBlocks: 0
; VGPRBlocks: 5
; NumSGPRsForWavesPerEU: 18
; NumVGPRsForWavesPerEU: 42
; Occupancy: 16
; WaveLimiterHint : 1
; COMPUTE_PGM_RSRC2:SCRATCH_EN: 0
; COMPUTE_PGM_RSRC2:USER_SGPR: 2
; COMPUTE_PGM_RSRC2:TRAP_HANDLER: 0
; COMPUTE_PGM_RSRC2:TGID_X_EN: 1
; COMPUTE_PGM_RSRC2:TGID_Y_EN: 0
; COMPUTE_PGM_RSRC2:TGID_Z_EN: 0
; COMPUTE_PGM_RSRC2:TIDIG_COMP_CNT: 0
	.section	.text._Z6kernelI26subtract_left_partial_tileLj256ELj16ELb0EJPxPiS1_jEEvDpT3_,"axG",@progbits,_Z6kernelI26subtract_left_partial_tileLj256ELj16ELb0EJPxPiS1_jEEvDpT3_,comdat
	.protected	_Z6kernelI26subtract_left_partial_tileLj256ELj16ELb0EJPxPiS1_jEEvDpT3_ ; -- Begin function _Z6kernelI26subtract_left_partial_tileLj256ELj16ELb0EJPxPiS1_jEEvDpT3_
	.globl	_Z6kernelI26subtract_left_partial_tileLj256ELj16ELb0EJPxPiS1_jEEvDpT3_
	.p2align	8
	.type	_Z6kernelI26subtract_left_partial_tileLj256ELj16ELb0EJPxPiS1_jEEvDpT3_,@function
_Z6kernelI26subtract_left_partial_tileLj256ELj16ELb0EJPxPiS1_jEEvDpT3_: ; @_Z6kernelI26subtract_left_partial_tileLj256ELj16ELb0EJPxPiS1_jEEvDpT3_
; %bb.0:
	s_clause 0x1
	s_load_b128 s[4:7], s[0:1], 0x0
	s_load_b96 s[8:10], s[0:1], 0x10
	s_lshl_b32 s2, ttmp9, 12
	s_mov_b32 s3, 0
	v_lshlrev_b32_e32 v35, 3, v0
	s_lshl_b64 s[12:13], s[2:3], 3
	s_mov_b32 s2, ttmp9
	v_lshlrev_b32_e32 v36, 4, v0
	v_cmp_ne_u32_e32 vcc_lo, 0, v0
	v_add_nc_u32_e32 v52, -8, v35
	s_delay_alu instid0(VALU_DEP_3)
	v_or_b32_e32 v37, 15, v36
	v_or_b32_e32 v38, 14, v36
	v_or_b32_e32 v39, 13, v36
	v_or_b32_e32 v40, 12, v36
	v_or_b32_e32 v41, 11, v36
	v_or_b32_e32 v42, 10, v36
	v_or_b32_e32 v43, 9, v36
	v_or_b32_e32 v44, 8, v36
	s_wait_kmcnt 0x0
	s_add_nc_u64 s[0:1], s[4:5], s[12:13]
	v_or_b32_e32 v45, 7, v36
	s_clause 0xf
	global_load_b64 v[31:32], v35, s[0:1]
	global_load_b64 v[29:30], v35, s[0:1] offset:2048
	global_load_b64 v[27:28], v35, s[0:1] offset:4096
	;; [unrolled: 1-line block ×15, first 2 shown]
	s_cvt_f32_u32 s0, s10
	s_sub_co_i32 s1, 0, s10
	v_or_b32_e32 v46, 6, v36
	v_or_b32_e32 v47, 5, v36
	v_rcp_iflag_f32_e32 v33, s0
	v_or_b32_e32 v48, 4, v36
	v_or_b32_e32 v49, 3, v36
	;; [unrolled: 1-line block ×4, first 2 shown]
	s_mov_b32 s4, s8
	s_delay_alu instid0(TRANS32_DEP_1) | instskip(SKIP_2) | instid1(SALU_CYCLE_2)
	v_readfirstlane_b32 s0, v33
	s_mul_f32 s0, s0, 0x4f7ffffe
	s_wait_alu 0xfffe
	s_cvt_u32_f32 s0, s0
	s_wait_alu 0xfffe
	s_delay_alu instid0(SALU_CYCLE_2)
	s_mul_i32 s1, s1, s0
	s_wait_alu 0xfffe
	s_mul_hi_u32 s1, s0, s1
	s_wait_alu 0xfffe
	s_add_co_i32 s5, s0, s1
	s_lshl_b64 s[0:1], s[2:3], 2
	s_lshr_b32 s2, s5, 20
	s_wait_alu 0xfffe
	s_add_nc_u64 s[0:1], s[6:7], s[0:1]
	s_mul_i32 s5, s2, s10
	s_load_b32 s3, s[0:1], 0x0
	s_sub_co_i32 s0, 0x1000, s5
	s_add_co_i32 s1, s2, 1
	s_wait_alu 0xfffe
	s_sub_co_i32 s5, s0, s10
	s_cmp_ge_u32 s0, s10
	s_cselect_b32 s1, s1, s2
	s_cselect_b32 s0, s5, s0
	s_wait_alu 0xfffe
	s_add_co_i32 s2, s1, 1
	s_cmp_ge_u32 s0, s10
	s_mov_b32 s5, s9
	s_cselect_b32 s6, s2, s1
	s_delay_alu instid0(SALU_CYCLE_1)
	s_add_co_i32 s6, s6, 1
	s_branch .LBB142_2
.LBB142_1:                              ;   in Loop: Header=BB142_2 Depth=1
	s_wait_alu 0xfffe
	s_or_b32 exec_lo, exec_lo, s1
	v_cmp_gt_u32_e64 s0, s3, v37
	v_cmp_gt_u32_e64 s1, s3, v38
	s_add_co_i32 s10, s10, -1
	s_wait_loadcnt 0x0
	s_barrier_signal -1
	s_wait_alu 0xf1ff
	v_cndmask_b32_e64 v53, 0, v4, s0
	v_cndmask_b32_e64 v54, 0, v3, s0
	v_cmp_gt_u32_e64 s0, s3, v39
	v_cndmask_b32_e64 v56, 0, v5, s1
	v_cndmask_b32_e64 v55, 0, v6, s1
	s_barrier_wait -1
	v_sub_co_u32 v54, s1, v1, v54
	s_wait_alu 0xf1ff
	v_cndmask_b32_e64 v57, 0, v8, s0
	v_cndmask_b32_e64 v58, 0, v7, s0
	v_sub_co_u32 v56, s0, v3, v56
	v_sub_co_ci_u32_e64 v53, null, v2, v53, s1
	s_wait_alu 0xf1ff
	v_sub_co_ci_u32_e64 v55, null, v4, v55, s0
	v_cmp_gt_u32_e64 s0, s3, v40
	v_cmp_gt_u32_e64 s1, s3, v41
	v_sub_co_u32 v58, s2, v5, v58
	s_wait_alu 0xf1ff
	v_sub_co_ci_u32_e64 v57, null, v6, v57, s2
	v_cndmask_b32_e64 v59, 0, v10, s0
	v_cndmask_b32_e64 v60, 0, v9, s0
	;; [unrolled: 1-line block ×3, first 2 shown]
	v_cmp_gt_u32_e64 s0, s3, v42
	v_cndmask_b32_e64 v61, 0, v12, s1
	global_inv scope:SCOPE_SE
	v_sub_co_u32 v60, s1, v7, v60
	s_wait_alu 0xf1ff
	v_cndmask_b32_e64 v63, 0, v14, s0
	v_cndmask_b32_e64 v64, 0, v13, s0
	v_sub_co_u32 v62, s0, v9, v62
	v_sub_co_ci_u32_e64 v59, null, v8, v59, s1
	s_wait_alu 0xf1ff
	v_sub_co_ci_u32_e64 v61, null, v10, v61, s0
	v_cmp_gt_u32_e64 s0, s3, v43
	v_cmp_gt_u32_e64 s1, s3, v44
	v_sub_co_u32 v64, s2, v11, v64
	s_wait_alu 0xf1ff
	v_sub_co_ci_u32_e64 v63, null, v12, v63, s2
	v_cndmask_b32_e64 v65, 0, v16, s0
	v_cndmask_b32_e64 v66, 0, v15, s0
	v_cndmask_b32_e64 v68, 0, v17, s1
	v_cmp_gt_u32_e64 s0, s3, v45
	v_cndmask_b32_e64 v67, 0, v18, s1
	s_delay_alu instid0(VALU_DEP_4) | instskip(SKIP_1) | instid1(VALU_DEP_3)
	v_sub_co_u32 v66, s1, v13, v66
	s_wait_alu 0xf1ff
	v_cndmask_b32_e64 v69, 0, v20, s0
	v_cndmask_b32_e64 v70, 0, v19, s0
	v_sub_co_u32 v68, s0, v15, v68
	v_sub_co_ci_u32_e64 v65, null, v14, v65, s1
	s_wait_alu 0xf1ff
	v_sub_co_ci_u32_e64 v67, null, v16, v67, s0
	v_cmp_gt_u32_e64 s0, s3, v46
	v_cmp_gt_u32_e64 s1, s3, v47
	v_sub_co_u32 v70, s2, v17, v70
	s_wait_alu 0xf1ff
	v_sub_co_ci_u32_e64 v69, null, v18, v69, s2
	v_cndmask_b32_e64 v71, 0, v22, s0
	v_cndmask_b32_e64 v72, 0, v21, s0
	;; [unrolled: 1-line block ×3, first 2 shown]
	v_cmp_gt_u32_e64 s0, s3, v48
	v_cndmask_b32_e64 v73, 0, v24, s1
	s_delay_alu instid0(VALU_DEP_4) | instskip(SKIP_1) | instid1(VALU_DEP_3)
	v_sub_co_u32 v72, s1, v19, v72
	s_wait_alu 0xf1ff
	v_cndmask_b32_e64 v75, 0, v26, s0
	v_cndmask_b32_e64 v76, 0, v25, s0
	v_sub_co_u32 v74, s0, v21, v74
	s_wait_alu 0xf1ff
	v_sub_co_ci_u32_e64 v73, null, v22, v73, s0
	v_cmp_gt_u32_e64 s0, s3, v49
	v_sub_co_ci_u32_e64 v71, null, v20, v71, s1
	v_cmp_gt_u32_e64 s1, s3, v50
	v_sub_co_u32 v76, s2, v23, v76
	s_wait_alu 0xf1ff
	v_cndmask_b32_e64 v77, 0, v28, s0
	v_cndmask_b32_e64 v78, 0, v27, s0
	v_cmp_gt_u32_e64 s0, s3, v51
	v_cndmask_b32_e64 v80, 0, v29, s1
	v_cndmask_b32_e64 v79, 0, v30, s1
	v_sub_co_ci_u32_e64 v75, null, v24, v75, s2
	s_wait_alu 0xf1ff
	v_cndmask_b32_e64 v82, 0, v31, s0
	v_cndmask_b32_e64 v81, 0, v32, s0
	v_sub_co_u32 v80, s0, v27, v80
	s_wait_alu 0xf1ff
	v_sub_co_ci_u32_e64 v79, null, v28, v79, s0
	v_sub_co_u32 v82, s0, v29, v82
	s_wait_alu 0xf1ff
	v_sub_co_ci_u32_e64 v81, null, v30, v81, s0
	v_add_co_u32 v31, s0, v33, v31
	v_sub_co_u32 v78, s1, v25, v78
	s_wait_alu 0xf1ff
	v_add_co_ci_u32_e64 v32, null, v34, v32, s0
	v_add_co_u32 v29, s0, v82, v29
	v_sub_co_ci_u32_e64 v77, null, v26, v77, s1
	s_wait_alu 0xf1ff
	v_add_co_ci_u32_e64 v30, null, v81, v30, s0
	v_add_co_u32 v27, s0, v80, v27
	s_wait_alu 0xf1ff
	v_add_co_ci_u32_e64 v28, null, v79, v28, s0
	v_add_co_u32 v25, s0, v78, v25
	;; [unrolled: 3-line block ×14, first 2 shown]
	s_add_co_i32 s1, s6, s3
	v_add_co_ci_u32_e64 v2, null, v53, v2, s0
	s_wait_alu 0xfffe
	s_and_b32 s3, s1, 0xfff
	s_cmp_lg_u32 s10, 0
	s_cbranch_scc0 .LBB142_4
.LBB142_2:                              ; =>This Inner Loop Header: Depth=1
	s_wait_kmcnt 0x0
	s_wait_alu 0xfffe
	v_cmp_gt_u32_e64 s0, s3, v36
	s_wait_loadcnt 0xf
	v_dual_mov_b32 v34, v32 :: v_dual_mov_b32 v33, v31
	s_wait_loadcnt 0x0
	ds_store_b64 v35, v[1:2]
	s_wait_dscnt 0x0
	s_and_b32 s0, vcc_lo, s0
	s_barrier_signal -1
	s_barrier_wait -1
	global_inv scope:SCOPE_SE
	s_wait_alu 0xfffe
	s_and_saveexec_b32 s1, s0
	s_cbranch_execz .LBB142_1
; %bb.3:                                ;   in Loop: Header=BB142_2 Depth=1
	ds_load_b64 v[33:34], v52
	s_wait_dscnt 0x0
	v_sub_co_u32 v33, s0, v31, v33
	s_wait_alu 0xf1ff
	v_sub_co_ci_u32_e64 v34, null, v32, v34, s0
	s_branch .LBB142_1
.LBB142_4:
	v_lshlrev_b32_e32 v0, 3, v0
	s_add_nc_u64 s[0:1], s[4:5], s[12:13]
	s_clause 0xf
	global_store_b64 v0, v[31:32], s[0:1]
	global_store_b64 v0, v[29:30], s[0:1] offset:2048
	global_store_b64 v0, v[27:28], s[0:1] offset:4096
	;; [unrolled: 1-line block ×15, first 2 shown]
	s_endpgm
	.section	.rodata,"a",@progbits
	.p2align	6, 0x0
	.amdhsa_kernel _Z6kernelI26subtract_left_partial_tileLj256ELj16ELb0EJPxPiS1_jEEvDpT3_
		.amdhsa_group_segment_fixed_size 4096
		.amdhsa_private_segment_fixed_size 0
		.amdhsa_kernarg_size 28
		.amdhsa_user_sgpr_count 2
		.amdhsa_user_sgpr_dispatch_ptr 0
		.amdhsa_user_sgpr_queue_ptr 0
		.amdhsa_user_sgpr_kernarg_segment_ptr 1
		.amdhsa_user_sgpr_dispatch_id 0
		.amdhsa_user_sgpr_private_segment_size 0
		.amdhsa_wavefront_size32 1
		.amdhsa_uses_dynamic_stack 0
		.amdhsa_enable_private_segment 0
		.amdhsa_system_sgpr_workgroup_id_x 1
		.amdhsa_system_sgpr_workgroup_id_y 0
		.amdhsa_system_sgpr_workgroup_id_z 0
		.amdhsa_system_sgpr_workgroup_info 0
		.amdhsa_system_vgpr_workitem_id 0
		.amdhsa_next_free_vgpr 83
		.amdhsa_next_free_sgpr 14
		.amdhsa_reserve_vcc 1
		.amdhsa_float_round_mode_32 0
		.amdhsa_float_round_mode_16_64 0
		.amdhsa_float_denorm_mode_32 3
		.amdhsa_float_denorm_mode_16_64 3
		.amdhsa_fp16_overflow 0
		.amdhsa_workgroup_processor_mode 1
		.amdhsa_memory_ordered 1
		.amdhsa_forward_progress 1
		.amdhsa_inst_pref_size 15
		.amdhsa_round_robin_scheduling 0
		.amdhsa_exception_fp_ieee_invalid_op 0
		.amdhsa_exception_fp_denorm_src 0
		.amdhsa_exception_fp_ieee_div_zero 0
		.amdhsa_exception_fp_ieee_overflow 0
		.amdhsa_exception_fp_ieee_underflow 0
		.amdhsa_exception_fp_ieee_inexact 0
		.amdhsa_exception_int_div_zero 0
	.end_amdhsa_kernel
	.section	.text._Z6kernelI26subtract_left_partial_tileLj256ELj16ELb0EJPxPiS1_jEEvDpT3_,"axG",@progbits,_Z6kernelI26subtract_left_partial_tileLj256ELj16ELb0EJPxPiS1_jEEvDpT3_,comdat
.Lfunc_end142:
	.size	_Z6kernelI26subtract_left_partial_tileLj256ELj16ELb0EJPxPiS1_jEEvDpT3_, .Lfunc_end142-_Z6kernelI26subtract_left_partial_tileLj256ELj16ELb0EJPxPiS1_jEEvDpT3_
                                        ; -- End function
	.set _Z6kernelI26subtract_left_partial_tileLj256ELj16ELb0EJPxPiS1_jEEvDpT3_.num_vgpr, 83
	.set _Z6kernelI26subtract_left_partial_tileLj256ELj16ELb0EJPxPiS1_jEEvDpT3_.num_agpr, 0
	.set _Z6kernelI26subtract_left_partial_tileLj256ELj16ELb0EJPxPiS1_jEEvDpT3_.numbered_sgpr, 14
	.set _Z6kernelI26subtract_left_partial_tileLj256ELj16ELb0EJPxPiS1_jEEvDpT3_.num_named_barrier, 0
	.set _Z6kernelI26subtract_left_partial_tileLj256ELj16ELb0EJPxPiS1_jEEvDpT3_.private_seg_size, 0
	.set _Z6kernelI26subtract_left_partial_tileLj256ELj16ELb0EJPxPiS1_jEEvDpT3_.uses_vcc, 1
	.set _Z6kernelI26subtract_left_partial_tileLj256ELj16ELb0EJPxPiS1_jEEvDpT3_.uses_flat_scratch, 0
	.set _Z6kernelI26subtract_left_partial_tileLj256ELj16ELb0EJPxPiS1_jEEvDpT3_.has_dyn_sized_stack, 0
	.set _Z6kernelI26subtract_left_partial_tileLj256ELj16ELb0EJPxPiS1_jEEvDpT3_.has_recursion, 0
	.set _Z6kernelI26subtract_left_partial_tileLj256ELj16ELb0EJPxPiS1_jEEvDpT3_.has_indirect_call, 0
	.section	.AMDGPU.csdata,"",@progbits
; Kernel info:
; codeLenInByte = 1852
; TotalNumSgprs: 16
; NumVgprs: 83
; ScratchSize: 0
; MemoryBound: 0
; FloatMode: 240
; IeeeMode: 1
; LDSByteSize: 4096 bytes/workgroup (compile time only)
; SGPRBlocks: 0
; VGPRBlocks: 10
; NumSGPRsForWavesPerEU: 16
; NumVGPRsForWavesPerEU: 83
; Occupancy: 16
; WaveLimiterHint : 1
; COMPUTE_PGM_RSRC2:SCRATCH_EN: 0
; COMPUTE_PGM_RSRC2:USER_SGPR: 2
; COMPUTE_PGM_RSRC2:TRAP_HANDLER: 0
; COMPUTE_PGM_RSRC2:TGID_X_EN: 1
; COMPUTE_PGM_RSRC2:TGID_Y_EN: 0
; COMPUTE_PGM_RSRC2:TGID_Z_EN: 0
; COMPUTE_PGM_RSRC2:TIDIG_COMP_CNT: 0
	.section	.text._Z6kernelI26subtract_left_partial_tileLj256ELj32ELb0EJPxPiS1_jEEvDpT3_,"axG",@progbits,_Z6kernelI26subtract_left_partial_tileLj256ELj32ELb0EJPxPiS1_jEEvDpT3_,comdat
	.protected	_Z6kernelI26subtract_left_partial_tileLj256ELj32ELb0EJPxPiS1_jEEvDpT3_ ; -- Begin function _Z6kernelI26subtract_left_partial_tileLj256ELj32ELb0EJPxPiS1_jEEvDpT3_
	.globl	_Z6kernelI26subtract_left_partial_tileLj256ELj32ELb0EJPxPiS1_jEEvDpT3_
	.p2align	8
	.type	_Z6kernelI26subtract_left_partial_tileLj256ELj32ELb0EJPxPiS1_jEEvDpT3_,@function
_Z6kernelI26subtract_left_partial_tileLj256ELj32ELb0EJPxPiS1_jEEvDpT3_: ; @_Z6kernelI26subtract_left_partial_tileLj256ELj32ELb0EJPxPiS1_jEEvDpT3_
; %bb.0:
	s_clause 0x1
	s_load_b128 s[4:7], s[0:1], 0x0
	s_load_b96 s[8:10], s[0:1], 0x10
	s_lshl_b32 s2, ttmp9, 13
	s_mov_b32 s3, 0
	v_lshlrev_b32_e32 v67, 3, v0
	s_lshl_b64 s[12:13], s[2:3], 3
	s_mov_b32 s2, ttmp9
	v_lshlrev_b32_e32 v68, 5, v0
	v_cmp_ne_u32_e32 vcc_lo, 0, v0
	v_add_nc_u32_e32 v100, -8, v67
	s_delay_alu instid0(VALU_DEP_3)
	v_or_b32_e32 v69, 31, v68
	v_or_b32_e32 v70, 30, v68
	;; [unrolled: 1-line block ×8, first 2 shown]
	s_wait_kmcnt 0x0
	s_add_nc_u64 s[4:5], s[4:5], s[12:13]
	s_cvt_f32_u32 s0, s10
	s_clause 0x1f
	global_load_b64 v[7:8], v67, s[4:5]
	global_load_b64 v[5:6], v67, s[4:5] offset:2048
	global_load_b64 v[3:4], v67, s[4:5] offset:4096
	;; [unrolled: 1-line block ×31, first 2 shown]
	v_or_b32_e32 v77, 23, v68
	v_or_b32_e32 v78, 22, v68
	v_rcp_iflag_f32_e32 v65, s0
	v_or_b32_e32 v79, 21, v68
	v_or_b32_e32 v80, 20, v68
	;; [unrolled: 1-line block ×9, first 2 shown]
	v_readfirstlane_b32 s0, v65
	v_or_b32_e32 v88, 12, v68
	v_or_b32_e32 v89, 11, v68
	;; [unrolled: 1-line block ×4, first 2 shown]
	s_mul_f32 s4, s0, 0x4f7ffffe
	s_lshl_b64 s[0:1], s[2:3], 2
	s_sub_co_i32 s3, 0, s10
	s_wait_alu 0xfffe
	s_add_nc_u64 s[0:1], s[6:7], s[0:1]
	s_cvt_u32_f32 s2, s4
	s_mov_b32 s4, s8
	v_or_b32_e32 v92, 8, v68
	v_or_b32_e32 v93, 7, v68
	s_mul_i32 s3, s3, s2
	v_or_b32_e32 v94, 6, v68
	s_mul_hi_u32 s3, s2, s3
	v_or_b32_e32 v95, 5, v68
	s_add_co_i32 s2, s2, s3
	v_or_b32_e32 v96, 4, v68
	s_lshr_b32 s2, s2, 19
	v_or_b32_e32 v97, 3, v68
	s_mul_i32 s3, s2, s10
	s_add_co_i32 s5, s2, 1
	s_sub_co_i32 s3, 0x2000, s3
	v_or_b32_e32 v98, 2, v68
	s_sub_co_i32 s8, s3, s10
	s_cmp_ge_u32 s3, s10
	v_or_b32_e32 v99, 1, v68
	s_cselect_b32 s2, s5, s2
	s_cselect_b32 s3, s8, s3
	s_add_co_i32 s5, s2, 1
	s_cmp_ge_u32 s3, s10
	s_load_b32 s3, s[0:1], 0x0
	s_cselect_b32 s6, s5, s2
	s_mov_b32 s5, s9
	s_add_co_i32 s6, s6, 1
	s_branch .LBB143_2
.LBB143_1:                              ;   in Loop: Header=BB143_2 Depth=1
	s_wait_alu 0xfffe
	s_or_b32 exec_lo, exec_lo, s1
	v_cmp_gt_u32_e64 s0, s3, v69
	v_cmp_gt_u32_e64 s1, s3, v70
	;; [unrolled: 1-line block ×3, first 2 shown]
	s_add_co_i32 s10, s10, -1
	s_wait_loadcnt 0x0
	s_wait_alu 0xf1ff
	v_cndmask_b32_e64 v101, 0, v59, s0
	v_cndmask_b32_e64 v102, 0, v60, s0
	v_cndmask_b32_e64 v103, 0, v61, s1
	v_cndmask_b32_e64 v104, 0, v62, s1
	v_cndmask_b32_e64 v105, 0, v63, s2
	v_sub_co_u32 v101, s0, v57, v101
	s_wait_alu 0xf1ff
	v_sub_co_ci_u32_e64 v102, null, v58, v102, s0
	v_cmp_gt_u32_e64 s0, s3, v72
	v_sub_co_u32 v103, s1, v59, v103
	s_wait_alu 0xf1ff
	v_sub_co_ci_u32_e64 v104, null, v60, v104, s1
	v_cmp_gt_u32_e64 s1, s3, v99
	v_cndmask_b32_e64 v106, 0, v64, s2
	v_cndmask_b32_e64 v108, 0, v49, s0
	;; [unrolled: 1-line block ×3, first 2 shown]
	v_sub_co_u32 v105, s0, v61, v105
	s_wait_alu 0xf1ff
	v_cndmask_b32_e64 v112, 0, v7, s1
	v_sub_co_ci_u32_e64 v106, null, v62, v106, s0
	v_cmp_gt_u32_e64 s0, s3, v73
	v_cndmask_b32_e64 v111, 0, v8, s1
	v_sub_co_u32 v108, s2, v63, v108
	v_cmp_gt_u32_e64 s1, s3, v98
	s_wait_alu 0xf1ff
	v_sub_co_ci_u32_e64 v107, null, v64, v107, s2
	v_sub_co_u32 v112, s2, v5, v112
	v_cndmask_b32_e64 v109, 0, v52, s0
	v_cndmask_b32_e64 v110, 0, v51, s0
	v_add_co_u32 v7, s0, v65, v7
	s_wait_alu 0xf1ff
	v_sub_co_ci_u32_e64 v111, null, v6, v111, s2
	v_add_co_ci_u32_e64 v8, null, v66, v8, s0
	v_cndmask_b32_e64 v66, 0, v5, s1
	v_cndmask_b32_e64 v113, 0, v6, s1
	v_add_co_u32 v5, s1, v112, v5
	s_wait_alu 0xf1ff
	v_add_co_ci_u32_e64 v6, null, v111, v6, s1
	v_cmp_gt_u32_e64 s1, s3, v97
	v_sub_co_u32 v66, s2, v3, v66
	s_wait_alu 0xf1ff
	v_sub_co_ci_u32_e64 v112, null, v4, v113, s2
	s_delay_alu instid0(VALU_DEP_3)
	v_cndmask_b32_e64 v111, 0, v3, s1
	v_cndmask_b32_e64 v113, 0, v4, s1
	v_add_co_u32 v3, s1, v66, v3
	s_wait_alu 0xf1ff
	v_add_co_ci_u32_e64 v4, null, v112, v4, s1
	v_cmp_gt_u32_e64 s1, s3, v96
	v_sub_co_u32 v111, s2, v1, v111
	s_wait_alu 0xf1ff
	v_sub_co_ci_u32_e64 v112, null, v2, v113, s2
	s_delay_alu instid0(VALU_DEP_3)
	v_cndmask_b32_e64 v66, 0, v1, s1
	v_cndmask_b32_e64 v113, 0, v2, s1
	v_add_co_u32 v1, s1, v111, v1
	s_wait_alu 0xf1ff
	v_add_co_ci_u32_e64 v2, null, v112, v2, s1
	v_cmp_gt_u32_e64 s1, s3, v95
	v_sub_co_u32 v66, s2, v15, v66
	s_wait_alu 0xf1ff
	v_sub_co_ci_u32_e64 v112, null, v16, v113, s2
	s_delay_alu instid0(VALU_DEP_3)
	v_cndmask_b32_e64 v111, 0, v15, s1
	v_cndmask_b32_e64 v113, 0, v16, s1
	v_add_co_u32 v15, s1, v66, v15
	s_wait_alu 0xf1ff
	v_add_co_ci_u32_e64 v16, null, v112, v16, s1
	v_cmp_gt_u32_e64 s1, s3, v94
	v_sub_co_u32 v111, s2, v13, v111
	s_wait_alu 0xf1ff
	v_sub_co_ci_u32_e64 v112, null, v14, v113, s2
	s_delay_alu instid0(VALU_DEP_3)
	v_cndmask_b32_e64 v66, 0, v13, s1
	v_cndmask_b32_e64 v113, 0, v14, s1
	v_add_co_u32 v13, s1, v111, v13
	s_wait_alu 0xf1ff
	v_add_co_ci_u32_e64 v14, null, v112, v14, s1
	v_cmp_gt_u32_e64 s1, s3, v93
	v_sub_co_u32 v66, s2, v11, v66
	s_wait_alu 0xf1ff
	v_sub_co_ci_u32_e64 v112, null, v12, v113, s2
	s_delay_alu instid0(VALU_DEP_3)
	v_cndmask_b32_e64 v111, 0, v11, s1
	v_cndmask_b32_e64 v113, 0, v12, s1
	v_add_co_u32 v11, s1, v66, v11
	s_wait_alu 0xf1ff
	v_add_co_ci_u32_e64 v12, null, v112, v12, s1
	v_cmp_gt_u32_e64 s1, s3, v92
	v_sub_co_u32 v111, s2, v9, v111
	s_wait_alu 0xf1ff
	v_sub_co_ci_u32_e64 v112, null, v10, v113, s2
	s_delay_alu instid0(VALU_DEP_3)
	v_cndmask_b32_e64 v66, 0, v9, s1
	v_cndmask_b32_e64 v113, 0, v10, s1
	v_add_co_u32 v9, s1, v111, v9
	s_wait_alu 0xf1ff
	v_add_co_ci_u32_e64 v10, null, v112, v10, s1
	v_cmp_gt_u32_e64 s1, s3, v91
	v_sub_co_u32 v66, s2, v23, v66
	s_wait_alu 0xf1ff
	v_sub_co_ci_u32_e64 v112, null, v24, v113, s2
	s_delay_alu instid0(VALU_DEP_3)
	v_cndmask_b32_e64 v111, 0, v23, s1
	v_cndmask_b32_e64 v113, 0, v24, s1
	v_add_co_u32 v23, s1, v66, v23
	s_wait_alu 0xf1ff
	v_add_co_ci_u32_e64 v24, null, v112, v24, s1
	v_cmp_gt_u32_e64 s1, s3, v90
	v_sub_co_u32 v111, s2, v21, v111
	s_wait_alu 0xf1ff
	v_sub_co_ci_u32_e64 v112, null, v22, v113, s2
	s_delay_alu instid0(VALU_DEP_3)
	v_cndmask_b32_e64 v66, 0, v21, s1
	v_cndmask_b32_e64 v113, 0, v22, s1
	v_add_co_u32 v21, s1, v111, v21
	s_wait_alu 0xf1ff
	v_add_co_ci_u32_e64 v22, null, v112, v22, s1
	v_cmp_gt_u32_e64 s1, s3, v89
	v_sub_co_u32 v66, s2, v19, v66
	s_wait_alu 0xf1ff
	v_sub_co_ci_u32_e64 v112, null, v20, v113, s2
	s_delay_alu instid0(VALU_DEP_3)
	v_cndmask_b32_e64 v111, 0, v19, s1
	v_cndmask_b32_e64 v113, 0, v20, s1
	v_add_co_u32 v19, s1, v66, v19
	s_wait_alu 0xf1ff
	v_add_co_ci_u32_e64 v20, null, v112, v20, s1
	v_cmp_gt_u32_e64 s1, s3, v88
	v_sub_co_u32 v111, s2, v17, v111
	s_wait_alu 0xf1ff
	v_sub_co_ci_u32_e64 v112, null, v18, v113, s2
	s_delay_alu instid0(VALU_DEP_3)
	v_cndmask_b32_e64 v66, 0, v17, s1
	v_cndmask_b32_e64 v113, 0, v18, s1
	v_add_co_u32 v17, s1, v111, v17
	s_wait_alu 0xf1ff
	v_add_co_ci_u32_e64 v18, null, v112, v18, s1
	v_cmp_gt_u32_e64 s1, s3, v87
	v_sub_co_u32 v66, s2, v31, v66
	s_wait_alu 0xf1ff
	v_sub_co_ci_u32_e64 v112, null, v32, v113, s2
	s_delay_alu instid0(VALU_DEP_3)
	v_cndmask_b32_e64 v111, 0, v31, s1
	v_cndmask_b32_e64 v113, 0, v32, s1
	v_add_co_u32 v31, s1, v66, v31
	s_wait_alu 0xf1ff
	v_add_co_ci_u32_e64 v32, null, v112, v32, s1
	v_cmp_gt_u32_e64 s1, s3, v86
	v_sub_co_u32 v111, s2, v29, v111
	s_wait_alu 0xf1ff
	v_sub_co_ci_u32_e64 v112, null, v30, v113, s2
	s_delay_alu instid0(VALU_DEP_3)
	v_cndmask_b32_e64 v66, 0, v29, s1
	v_cndmask_b32_e64 v113, 0, v30, s1
	v_add_co_u32 v29, s1, v111, v29
	s_wait_alu 0xf1ff
	v_add_co_ci_u32_e64 v30, null, v112, v30, s1
	v_cmp_gt_u32_e64 s1, s3, v85
	v_sub_co_u32 v66, s2, v27, v66
	s_wait_alu 0xf1ff
	v_sub_co_ci_u32_e64 v112, null, v28, v113, s2
	s_delay_alu instid0(VALU_DEP_3)
	v_cndmask_b32_e64 v111, 0, v27, s1
	v_cndmask_b32_e64 v113, 0, v28, s1
	v_add_co_u32 v27, s1, v66, v27
	s_wait_alu 0xf1ff
	v_add_co_ci_u32_e64 v28, null, v112, v28, s1
	v_cmp_gt_u32_e64 s1, s3, v84
	v_sub_co_u32 v111, s2, v25, v111
	s_wait_alu 0xf1ff
	v_sub_co_ci_u32_e64 v112, null, v26, v113, s2
	s_delay_alu instid0(VALU_DEP_3)
	v_cndmask_b32_e64 v66, 0, v25, s1
	v_cndmask_b32_e64 v113, 0, v26, s1
	v_add_co_u32 v25, s1, v111, v25
	s_wait_alu 0xf1ff
	v_add_co_ci_u32_e64 v26, null, v112, v26, s1
	v_cmp_gt_u32_e64 s1, s3, v83
	v_sub_co_u32 v66, s2, v39, v66
	s_wait_alu 0xf1ff
	v_sub_co_ci_u32_e64 v112, null, v40, v113, s2
	s_delay_alu instid0(VALU_DEP_3)
	v_cndmask_b32_e64 v111, 0, v39, s1
	v_cndmask_b32_e64 v113, 0, v40, s1
	v_add_co_u32 v39, s1, v66, v39
	s_wait_alu 0xf1ff
	v_add_co_ci_u32_e64 v40, null, v112, v40, s1
	v_cmp_gt_u32_e64 s1, s3, v82
	v_sub_co_u32 v111, s2, v37, v111
	s_wait_alu 0xf1ff
	v_sub_co_ci_u32_e64 v112, null, v38, v113, s2
	s_delay_alu instid0(VALU_DEP_3)
	v_cndmask_b32_e64 v66, 0, v37, s1
	v_cndmask_b32_e64 v113, 0, v38, s1
	v_add_co_u32 v37, s1, v111, v37
	s_wait_alu 0xf1ff
	v_add_co_ci_u32_e64 v38, null, v112, v38, s1
	v_cmp_gt_u32_e64 s1, s3, v81
	v_sub_co_u32 v66, s2, v35, v66
	s_wait_alu 0xf1ff
	v_sub_co_ci_u32_e64 v112, null, v36, v113, s2
	s_delay_alu instid0(VALU_DEP_3)
	v_cndmask_b32_e64 v111, 0, v35, s1
	v_cndmask_b32_e64 v113, 0, v36, s1
	v_add_co_u32 v35, s1, v66, v35
	s_wait_alu 0xf1ff
	v_add_co_ci_u32_e64 v36, null, v112, v36, s1
	v_cmp_gt_u32_e64 s1, s3, v80
	v_sub_co_u32 v111, s2, v33, v111
	s_wait_alu 0xf1ff
	v_sub_co_ci_u32_e64 v112, null, v34, v113, s2
	s_delay_alu instid0(VALU_DEP_3)
	v_cndmask_b32_e64 v66, 0, v33, s1
	v_cndmask_b32_e64 v113, 0, v34, s1
	v_add_co_u32 v33, s1, v111, v33
	s_wait_alu 0xf1ff
	v_add_co_ci_u32_e64 v34, null, v112, v34, s1
	v_cmp_gt_u32_e64 s1, s3, v79
	v_sub_co_u32 v66, s2, v47, v66
	s_wait_alu 0xf1ff
	v_sub_co_ci_u32_e64 v112, null, v48, v113, s2
	s_delay_alu instid0(VALU_DEP_3)
	v_cndmask_b32_e64 v111, 0, v47, s1
	v_cndmask_b32_e64 v113, 0, v48, s1
	v_add_co_u32 v47, s1, v66, v47
	s_wait_alu 0xf1ff
	v_add_co_ci_u32_e64 v48, null, v112, v48, s1
	v_cmp_gt_u32_e64 s1, s3, v78
	v_sub_co_u32 v111, s2, v45, v111
	s_wait_alu 0xf1ff
	v_sub_co_ci_u32_e64 v112, null, v46, v113, s2
	s_delay_alu instid0(VALU_DEP_3)
	v_cndmask_b32_e64 v66, 0, v45, s1
	v_cndmask_b32_e64 v113, 0, v46, s1
	v_add_co_u32 v45, s1, v111, v45
	s_wait_alu 0xf1ff
	v_add_co_ci_u32_e64 v46, null, v112, v46, s1
	v_cmp_gt_u32_e64 s1, s3, v77
	v_sub_co_u32 v66, s2, v43, v66
	s_wait_alu 0xf1ff
	v_sub_co_ci_u32_e64 v112, null, v44, v113, s2
	s_delay_alu instid0(VALU_DEP_3)
	v_cndmask_b32_e64 v111, 0, v43, s1
	v_cndmask_b32_e64 v113, 0, v44, s1
	v_add_co_u32 v43, s1, v66, v43
	s_wait_alu 0xf1ff
	v_add_co_ci_u32_e64 v44, null, v112, v44, s1
	v_cmp_gt_u32_e64 s1, s3, v76
	v_sub_co_u32 v111, s2, v41, v111
	s_wait_alu 0xf1ff
	v_sub_co_ci_u32_e64 v112, null, v42, v113, s2
	s_delay_alu instid0(VALU_DEP_3)
	v_cndmask_b32_e64 v66, 0, v41, s1
	v_cndmask_b32_e64 v113, 0, v42, s1
	v_add_co_u32 v41, s1, v111, v41
	s_wait_alu 0xf1ff
	v_add_co_ci_u32_e64 v42, null, v112, v42, s1
	v_cmp_gt_u32_e64 s1, s3, v75
	v_cmp_gt_u32_e64 s0, s3, v74
	v_sub_co_u32 v66, s2, v55, v66
	s_wait_alu 0xf1ff
	v_sub_co_ci_u32_e64 v112, null, v56, v113, s2
	v_cndmask_b32_e64 v111, 0, v55, s1
	v_cndmask_b32_e64 v113, 0, v56, s1
	v_add_co_u32 v55, s1, v66, v55
	v_cndmask_b32_e64 v66, 0, v53, s0
	v_cndmask_b32_e64 v65, 0, v54, s0
	v_sub_co_u32 v110, s0, v49, v110
	s_wait_alu 0xf1ff
	v_sub_co_ci_u32_e64 v109, null, v50, v109, s0
	v_sub_co_u32 v111, s0, v53, v111
	v_add_co_ci_u32_e64 v56, null, v112, v56, s1
	s_wait_alu 0xf1ff
	v_sub_co_ci_u32_e64 v112, null, v54, v113, s0
	v_sub_co_u32 v66, s0, v51, v66
	s_wait_alu 0xf1ff
	v_sub_co_ci_u32_e64 v65, null, v52, v65, s0
	v_add_co_u32 v53, s0, v111, v53
	s_wait_alu 0xf1ff
	v_add_co_ci_u32_e64 v54, null, v112, v54, s0
	v_add_co_u32 v51, s0, v66, v51
	s_wait_alu 0xf1ff
	v_add_co_ci_u32_e64 v52, null, v65, v52, s0
	;; [unrolled: 3-line block ×6, first 2 shown]
	v_add_co_u32 v57, s0, v101, v57
	s_add_co_i32 s1, s6, s3
	v_add_co_ci_u32_e64 v58, null, v102, v58, s0
	s_wait_alu 0xfffe
	s_and_b32 s3, s1, 0x1fff
	s_cmp_lg_u32 s10, 0
	s_barrier_signal -1
	s_barrier_wait -1
	global_inv scope:SCOPE_SE
	s_cbranch_scc0 .LBB143_4
.LBB143_2:                              ; =>This Inner Loop Header: Depth=1
	s_wait_kmcnt 0x0
	s_wait_alu 0xfffe
	v_cmp_gt_u32_e64 s0, s3, v68
	s_wait_loadcnt 0x1f
	v_dual_mov_b32 v66, v8 :: v_dual_mov_b32 v65, v7
	s_wait_loadcnt 0x0
	ds_store_b64 v67, v[57:58]
	s_wait_dscnt 0x0
	s_and_b32 s0, vcc_lo, s0
	s_barrier_signal -1
	s_barrier_wait -1
	global_inv scope:SCOPE_SE
	s_wait_alu 0xfffe
	s_and_saveexec_b32 s1, s0
	s_cbranch_execz .LBB143_1
; %bb.3:                                ;   in Loop: Header=BB143_2 Depth=1
	ds_load_b64 v[65:66], v100
	s_wait_dscnt 0x0
	v_sub_co_u32 v65, s0, v7, v65
	s_wait_alu 0xf1ff
	v_sub_co_ci_u32_e64 v66, null, v8, v66, s0
	s_branch .LBB143_1
.LBB143_4:
	v_lshlrev_b32_e32 v0, 3, v0
	s_add_nc_u64 s[0:1], s[4:5], s[12:13]
	s_clause 0x1f
	global_store_b64 v0, v[7:8], s[0:1]
	global_store_b64 v0, v[5:6], s[0:1] offset:2048
	global_store_b64 v0, v[3:4], s[0:1] offset:4096
	;; [unrolled: 1-line block ×31, first 2 shown]
	s_nop 0
	s_sendmsg sendmsg(MSG_DEALLOC_VGPRS)
	s_endpgm
	.section	.rodata,"a",@progbits
	.p2align	6, 0x0
	.amdhsa_kernel _Z6kernelI26subtract_left_partial_tileLj256ELj32ELb0EJPxPiS1_jEEvDpT3_
		.amdhsa_group_segment_fixed_size 4096
		.amdhsa_private_segment_fixed_size 0
		.amdhsa_kernarg_size 28
		.amdhsa_user_sgpr_count 2
		.amdhsa_user_sgpr_dispatch_ptr 0
		.amdhsa_user_sgpr_queue_ptr 0
		.amdhsa_user_sgpr_kernarg_segment_ptr 1
		.amdhsa_user_sgpr_dispatch_id 0
		.amdhsa_user_sgpr_private_segment_size 0
		.amdhsa_wavefront_size32 1
		.amdhsa_uses_dynamic_stack 0
		.amdhsa_enable_private_segment 0
		.amdhsa_system_sgpr_workgroup_id_x 1
		.amdhsa_system_sgpr_workgroup_id_y 0
		.amdhsa_system_sgpr_workgroup_id_z 0
		.amdhsa_system_sgpr_workgroup_info 0
		.amdhsa_system_vgpr_workitem_id 0
		.amdhsa_next_free_vgpr 114
		.amdhsa_next_free_sgpr 14
		.amdhsa_reserve_vcc 1
		.amdhsa_float_round_mode_32 0
		.amdhsa_float_round_mode_16_64 0
		.amdhsa_float_denorm_mode_32 3
		.amdhsa_float_denorm_mode_16_64 3
		.amdhsa_fp16_overflow 0
		.amdhsa_workgroup_processor_mode 1
		.amdhsa_memory_ordered 1
		.amdhsa_forward_progress 1
		.amdhsa_inst_pref_size 27
		.amdhsa_round_robin_scheduling 0
		.amdhsa_exception_fp_ieee_invalid_op 0
		.amdhsa_exception_fp_denorm_src 0
		.amdhsa_exception_fp_ieee_div_zero 0
		.amdhsa_exception_fp_ieee_overflow 0
		.amdhsa_exception_fp_ieee_underflow 0
		.amdhsa_exception_fp_ieee_inexact 0
		.amdhsa_exception_int_div_zero 0
	.end_amdhsa_kernel
	.section	.text._Z6kernelI26subtract_left_partial_tileLj256ELj32ELb0EJPxPiS1_jEEvDpT3_,"axG",@progbits,_Z6kernelI26subtract_left_partial_tileLj256ELj32ELb0EJPxPiS1_jEEvDpT3_,comdat
.Lfunc_end143:
	.size	_Z6kernelI26subtract_left_partial_tileLj256ELj32ELb0EJPxPiS1_jEEvDpT3_, .Lfunc_end143-_Z6kernelI26subtract_left_partial_tileLj256ELj32ELb0EJPxPiS1_jEEvDpT3_
                                        ; -- End function
	.set _Z6kernelI26subtract_left_partial_tileLj256ELj32ELb0EJPxPiS1_jEEvDpT3_.num_vgpr, 114
	.set _Z6kernelI26subtract_left_partial_tileLj256ELj32ELb0EJPxPiS1_jEEvDpT3_.num_agpr, 0
	.set _Z6kernelI26subtract_left_partial_tileLj256ELj32ELb0EJPxPiS1_jEEvDpT3_.numbered_sgpr, 14
	.set _Z6kernelI26subtract_left_partial_tileLj256ELj32ELb0EJPxPiS1_jEEvDpT3_.num_named_barrier, 0
	.set _Z6kernelI26subtract_left_partial_tileLj256ELj32ELb0EJPxPiS1_jEEvDpT3_.private_seg_size, 0
	.set _Z6kernelI26subtract_left_partial_tileLj256ELj32ELb0EJPxPiS1_jEEvDpT3_.uses_vcc, 1
	.set _Z6kernelI26subtract_left_partial_tileLj256ELj32ELb0EJPxPiS1_jEEvDpT3_.uses_flat_scratch, 0
	.set _Z6kernelI26subtract_left_partial_tileLj256ELj32ELb0EJPxPiS1_jEEvDpT3_.has_dyn_sized_stack, 0
	.set _Z6kernelI26subtract_left_partial_tileLj256ELj32ELb0EJPxPiS1_jEEvDpT3_.has_recursion, 0
	.set _Z6kernelI26subtract_left_partial_tileLj256ELj32ELb0EJPxPiS1_jEEvDpT3_.has_indirect_call, 0
	.section	.AMDGPU.csdata,"",@progbits
; Kernel info:
; codeLenInByte = 3368
; TotalNumSgprs: 16
; NumVgprs: 114
; ScratchSize: 0
; MemoryBound: 0
; FloatMode: 240
; IeeeMode: 1
; LDSByteSize: 4096 bytes/workgroup (compile time only)
; SGPRBlocks: 0
; VGPRBlocks: 14
; NumSGPRsForWavesPerEU: 16
; NumVGPRsForWavesPerEU: 114
; Occupancy: 12
; WaveLimiterHint : 1
; COMPUTE_PGM_RSRC2:SCRATCH_EN: 0
; COMPUTE_PGM_RSRC2:USER_SGPR: 2
; COMPUTE_PGM_RSRC2:TRAP_HANDLER: 0
; COMPUTE_PGM_RSRC2:TGID_X_EN: 1
; COMPUTE_PGM_RSRC2:TGID_Y_EN: 0
; COMPUTE_PGM_RSRC2:TGID_Z_EN: 0
; COMPUTE_PGM_RSRC2:TIDIG_COMP_CNT: 0
	.section	.text._Z6kernelI26subtract_left_partial_tileLj256ELj1ELb0EJPdPiS1_jEEvDpT3_,"axG",@progbits,_Z6kernelI26subtract_left_partial_tileLj256ELj1ELb0EJPdPiS1_jEEvDpT3_,comdat
	.protected	_Z6kernelI26subtract_left_partial_tileLj256ELj1ELb0EJPdPiS1_jEEvDpT3_ ; -- Begin function _Z6kernelI26subtract_left_partial_tileLj256ELj1ELb0EJPdPiS1_jEEvDpT3_
	.globl	_Z6kernelI26subtract_left_partial_tileLj256ELj1ELb0EJPdPiS1_jEEvDpT3_
	.p2align	8
	.type	_Z6kernelI26subtract_left_partial_tileLj256ELj1ELb0EJPdPiS1_jEEvDpT3_,@function
_Z6kernelI26subtract_left_partial_tileLj256ELj1ELb0EJPdPiS1_jEEvDpT3_: ; @_Z6kernelI26subtract_left_partial_tileLj256ELj1ELb0EJPdPiS1_jEEvDpT3_
; %bb.0:
	s_load_b128 s[8:11], s[0:1], 0x0
	s_lshl_b32 s6, ttmp9, 8
	s_mov_b32 s7, 0
	v_lshlrev_b32_e32 v5, 3, v0
	s_lshl_b64 s[4:5], s[6:7], 3
	s_load_b96 s[0:2], s[0:1], 0x10
	v_cmp_ne_u32_e32 vcc_lo, 0, v0
	s_delay_alu instid0(VALU_DEP_2)
	v_add_nc_u32_e32 v6, -8, v5
	s_wait_kmcnt 0x0
	s_add_nc_u64 s[8:9], s[8:9], s[4:5]
	global_load_b64 v[1:2], v5, s[8:9]
	s_cvt_f32_u32 s3, s2
	s_sub_co_i32 s6, 0, s2
	s_delay_alu instid0(SALU_CYCLE_2) | instskip(NEXT) | instid1(TRANS32_DEP_1)
	v_rcp_iflag_f32_e32 v3, s3
	v_readfirstlane_b32 s3, v3
	s_mul_f32 s3, s3, 0x4f7ffffe
	s_wait_alu 0xfffe
	s_delay_alu instid0(SALU_CYCLE_2) | instskip(SKIP_1) | instid1(SALU_CYCLE_2)
	s_cvt_u32_f32 s3, s3
	s_wait_alu 0xfffe
	s_mul_i32 s8, s6, s3
	s_mov_b32 s6, ttmp9
	s_mul_hi_u32 s8, s3, s8
	s_lshl_b64 s[6:7], s[6:7], 2
	s_add_co_i32 s8, s3, s8
	s_add_nc_u64 s[6:7], s[10:11], s[6:7]
	s_load_b32 s3, s[6:7], 0x0
	s_lshr_b32 s7, s8, 24
	s_delay_alu instid0(SALU_CYCLE_1)
	s_mul_i32 s6, s7, s2
	s_add_co_i32 s9, s7, 1
	s_sub_co_i32 s8, 0x100, s6
	s_mov_b32 s6, s0
	s_sub_co_i32 s10, s8, s2
	s_cmp_ge_u32 s8, s2
	s_cselect_b32 s0, s9, s7
	s_cselect_b32 s7, s10, s8
	s_add_co_i32 s8, s0, 1
	s_cmp_ge_u32 s7, s2
	s_mov_b32 s7, s1
	s_cselect_b32 s0, s8, s0
	s_delay_alu instid0(SALU_CYCLE_1)
	s_add_co_i32 s1, s0, 1
	s_branch .LBB144_2
.LBB144_1:                              ;   in Loop: Header=BB144_2 Depth=1
	s_or_b32 exec_lo, exec_lo, s0
	s_delay_alu instid0(VALU_DEP_1)
	v_add_f64_e32 v[1:2], v[1:2], v[3:4]
	s_add_co_i32 s0, s1, s3
	s_add_co_i32 s2, s2, -1
	s_and_b32 s3, s0, 0xff
	s_wait_alu 0xfffe
	s_cmp_lg_u32 s2, 0
	s_wait_loadcnt 0x0
	s_barrier_signal -1
	s_barrier_wait -1
	global_inv scope:SCOPE_SE
	s_cbranch_scc0 .LBB144_4
.LBB144_2:                              ; =>This Inner Loop Header: Depth=1
	s_wait_kmcnt 0x0
	v_cmp_gt_u32_e64 s0, s3, v0
	s_wait_loadcnt 0x0
	v_dual_mov_b32 v4, v2 :: v_dual_mov_b32 v3, v1
	ds_store_b64 v5, v[1:2]
	s_wait_dscnt 0x0
	s_and_b32 s8, vcc_lo, s0
	s_barrier_signal -1
	s_barrier_wait -1
	global_inv scope:SCOPE_SE
	s_and_saveexec_b32 s0, s8
	s_cbranch_execz .LBB144_1
; %bb.3:                                ;   in Loop: Header=BB144_2 Depth=1
	ds_load_b64 v[3:4], v6
	s_wait_dscnt 0x0
	v_add_f64_e64 v[3:4], v[1:2], -v[3:4]
	s_branch .LBB144_1
.LBB144_4:
	v_lshlrev_b32_e32 v0, 3, v0
	s_add_nc_u64 s[0:1], s[6:7], s[4:5]
	global_store_b64 v0, v[1:2], s[0:1]
	s_endpgm
	.section	.rodata,"a",@progbits
	.p2align	6, 0x0
	.amdhsa_kernel _Z6kernelI26subtract_left_partial_tileLj256ELj1ELb0EJPdPiS1_jEEvDpT3_
		.amdhsa_group_segment_fixed_size 4096
		.amdhsa_private_segment_fixed_size 0
		.amdhsa_kernarg_size 28
		.amdhsa_user_sgpr_count 2
		.amdhsa_user_sgpr_dispatch_ptr 0
		.amdhsa_user_sgpr_queue_ptr 0
		.amdhsa_user_sgpr_kernarg_segment_ptr 1
		.amdhsa_user_sgpr_dispatch_id 0
		.amdhsa_user_sgpr_private_segment_size 0
		.amdhsa_wavefront_size32 1
		.amdhsa_uses_dynamic_stack 0
		.amdhsa_enable_private_segment 0
		.amdhsa_system_sgpr_workgroup_id_x 1
		.amdhsa_system_sgpr_workgroup_id_y 0
		.amdhsa_system_sgpr_workgroup_id_z 0
		.amdhsa_system_sgpr_workgroup_info 0
		.amdhsa_system_vgpr_workitem_id 0
		.amdhsa_next_free_vgpr 7
		.amdhsa_next_free_sgpr 12
		.amdhsa_reserve_vcc 1
		.amdhsa_float_round_mode_32 0
		.amdhsa_float_round_mode_16_64 0
		.amdhsa_float_denorm_mode_32 3
		.amdhsa_float_denorm_mode_16_64 3
		.amdhsa_fp16_overflow 0
		.amdhsa_workgroup_processor_mode 1
		.amdhsa_memory_ordered 1
		.amdhsa_forward_progress 1
		.amdhsa_inst_pref_size 4
		.amdhsa_round_robin_scheduling 0
		.amdhsa_exception_fp_ieee_invalid_op 0
		.amdhsa_exception_fp_denorm_src 0
		.amdhsa_exception_fp_ieee_div_zero 0
		.amdhsa_exception_fp_ieee_overflow 0
		.amdhsa_exception_fp_ieee_underflow 0
		.amdhsa_exception_fp_ieee_inexact 0
		.amdhsa_exception_int_div_zero 0
	.end_amdhsa_kernel
	.section	.text._Z6kernelI26subtract_left_partial_tileLj256ELj1ELb0EJPdPiS1_jEEvDpT3_,"axG",@progbits,_Z6kernelI26subtract_left_partial_tileLj256ELj1ELb0EJPdPiS1_jEEvDpT3_,comdat
.Lfunc_end144:
	.size	_Z6kernelI26subtract_left_partial_tileLj256ELj1ELb0EJPdPiS1_jEEvDpT3_, .Lfunc_end144-_Z6kernelI26subtract_left_partial_tileLj256ELj1ELb0EJPdPiS1_jEEvDpT3_
                                        ; -- End function
	.set _Z6kernelI26subtract_left_partial_tileLj256ELj1ELb0EJPdPiS1_jEEvDpT3_.num_vgpr, 7
	.set _Z6kernelI26subtract_left_partial_tileLj256ELj1ELb0EJPdPiS1_jEEvDpT3_.num_agpr, 0
	.set _Z6kernelI26subtract_left_partial_tileLj256ELj1ELb0EJPdPiS1_jEEvDpT3_.numbered_sgpr, 12
	.set _Z6kernelI26subtract_left_partial_tileLj256ELj1ELb0EJPdPiS1_jEEvDpT3_.num_named_barrier, 0
	.set _Z6kernelI26subtract_left_partial_tileLj256ELj1ELb0EJPdPiS1_jEEvDpT3_.private_seg_size, 0
	.set _Z6kernelI26subtract_left_partial_tileLj256ELj1ELb0EJPdPiS1_jEEvDpT3_.uses_vcc, 1
	.set _Z6kernelI26subtract_left_partial_tileLj256ELj1ELb0EJPdPiS1_jEEvDpT3_.uses_flat_scratch, 0
	.set _Z6kernelI26subtract_left_partial_tileLj256ELj1ELb0EJPdPiS1_jEEvDpT3_.has_dyn_sized_stack, 0
	.set _Z6kernelI26subtract_left_partial_tileLj256ELj1ELb0EJPdPiS1_jEEvDpT3_.has_recursion, 0
	.set _Z6kernelI26subtract_left_partial_tileLj256ELj1ELb0EJPdPiS1_jEEvDpT3_.has_indirect_call, 0
	.section	.AMDGPU.csdata,"",@progbits
; Kernel info:
; codeLenInByte = 392
; TotalNumSgprs: 14
; NumVgprs: 7
; ScratchSize: 0
; MemoryBound: 0
; FloatMode: 240
; IeeeMode: 1
; LDSByteSize: 4096 bytes/workgroup (compile time only)
; SGPRBlocks: 0
; VGPRBlocks: 0
; NumSGPRsForWavesPerEU: 14
; NumVGPRsForWavesPerEU: 7
; Occupancy: 16
; WaveLimiterHint : 0
; COMPUTE_PGM_RSRC2:SCRATCH_EN: 0
; COMPUTE_PGM_RSRC2:USER_SGPR: 2
; COMPUTE_PGM_RSRC2:TRAP_HANDLER: 0
; COMPUTE_PGM_RSRC2:TGID_X_EN: 1
; COMPUTE_PGM_RSRC2:TGID_Y_EN: 0
; COMPUTE_PGM_RSRC2:TGID_Z_EN: 0
; COMPUTE_PGM_RSRC2:TIDIG_COMP_CNT: 0
	.section	.text._Z6kernelI26subtract_left_partial_tileLj256ELj3ELb0EJPdPiS1_jEEvDpT3_,"axG",@progbits,_Z6kernelI26subtract_left_partial_tileLj256ELj3ELb0EJPdPiS1_jEEvDpT3_,comdat
	.protected	_Z6kernelI26subtract_left_partial_tileLj256ELj3ELb0EJPdPiS1_jEEvDpT3_ ; -- Begin function _Z6kernelI26subtract_left_partial_tileLj256ELj3ELb0EJPdPiS1_jEEvDpT3_
	.globl	_Z6kernelI26subtract_left_partial_tileLj256ELj3ELb0EJPdPiS1_jEEvDpT3_
	.p2align	8
	.type	_Z6kernelI26subtract_left_partial_tileLj256ELj3ELb0EJPdPiS1_jEEvDpT3_,@function
_Z6kernelI26subtract_left_partial_tileLj256ELj3ELb0EJPdPiS1_jEEvDpT3_: ; @_Z6kernelI26subtract_left_partial_tileLj256ELj3ELb0EJPdPiS1_jEEvDpT3_
; %bb.0:
	s_load_b128 s[8:11], s[0:1], 0x0
	s_mul_i32 s6, ttmp9, 0x300
	s_mov_b32 s7, 0
	v_lshlrev_b32_e32 v9, 3, v0
	s_lshl_b64 s[4:5], s[6:7], 3
	s_load_b96 s[0:2], s[0:1], 0x10
	v_mul_u32_u24_e32 v10, 3, v0
	v_mad_u32_u24 v11, v0, 3, 2
	v_mad_u32_u24 v12, v0, 3, 1
	v_add_nc_u32_e32 v13, -8, v9
	v_cmp_ne_u32_e32 vcc_lo, 0, v0
	s_wait_kmcnt 0x0
	s_add_nc_u64 s[8:9], s[8:9], s[4:5]
	s_clause 0x2
	global_load_b64 v[1:2], v9, s[8:9]
	global_load_b64 v[3:4], v9, s[8:9] offset:2048
	global_load_b64 v[5:6], v9, s[8:9] offset:4096
	s_cvt_f32_u32 s3, s2
	s_sub_co_i32 s6, 0, s2
	s_delay_alu instid0(SALU_CYCLE_2) | instskip(NEXT) | instid1(TRANS32_DEP_1)
	v_rcp_iflag_f32_e32 v7, s3
	v_readfirstlane_b32 s3, v7
	s_mul_f32 s3, s3, 0x4f7ffffe
	s_wait_alu 0xfffe
	s_delay_alu instid0(SALU_CYCLE_2) | instskip(SKIP_1) | instid1(SALU_CYCLE_2)
	s_cvt_u32_f32 s3, s3
	s_wait_alu 0xfffe
	s_mul_i32 s6, s6, s3
	s_delay_alu instid0(SALU_CYCLE_1)
	s_mul_hi_u32 s8, s3, s6
	s_mov_b32 s6, ttmp9
	s_add_co_i32 s3, s3, s8
	s_lshl_b64 s[6:7], s[6:7], 2
	s_wait_alu 0xfffe
	s_mul_hi_u32 s8, s3, 0x300
	s_add_nc_u64 s[6:7], s[10:11], s[6:7]
	s_add_co_i32 s9, s8, 1
	s_load_b32 s3, s[6:7], 0x0
	s_mul_i32 s6, s8, s2
	s_delay_alu instid0(SALU_CYCLE_1)
	s_sub_co_i32 s7, 0x300, s6
	s_mov_b32 s6, s0
	s_sub_co_i32 s10, s7, s2
	s_cmp_ge_u32 s7, s2
	s_cselect_b32 s0, s9, s8
	s_cselect_b32 s7, s10, s7
	s_add_co_i32 s8, s0, 1
	s_cmp_ge_u32 s7, s2
	s_mov_b32 s7, s1
	s_cselect_b32 s8, s8, s0
	s_delay_alu instid0(SALU_CYCLE_1)
	s_add_co_i32 s8, s8, 1
	s_branch .LBB145_2
.LBB145_1:                              ;   in Loop: Header=BB145_2 Depth=1
	s_wait_alu 0xfffe
	s_or_b32 exec_lo, exec_lo, s0
	v_add_f64_e64 v[14:15], v[5:6], -v[3:4]
	v_add_f64_e64 v[16:17], v[3:4], -v[1:2]
	v_cmp_gt_u32_e64 s0, s3, v12
	v_cmp_gt_u32_e64 s1, s3, v11
	v_add_f64_e32 v[1:2], v[1:2], v[7:8]
	s_add_co_i32 s2, s2, -1
	s_wait_loadcnt 0x0
	s_barrier_signal -1
	s_barrier_wait -1
	global_inv scope:SCOPE_SE
	v_cndmask_b32_e64 v15, v6, v15, s1
	v_cndmask_b32_e64 v17, v4, v17, s0
	;; [unrolled: 1-line block ×4, first 2 shown]
	s_add_co_i32 s0, s8, s3
	s_wait_alu 0xfffe
	s_mul_hi_u32 s1, s0, 0xaaaaaaab
	v_add_f64_e32 v[3:4], v[3:4], v[16:17]
	v_add_f64_e32 v[5:6], v[5:6], v[14:15]
	s_wait_alu 0xfffe
	s_lshr_b32 s1, s1, 9
	s_wait_alu 0xfffe
	s_mulk_i32 s1, 0x300
	s_wait_alu 0xfffe
	s_sub_co_i32 s3, s0, s1
	s_cmp_lg_u32 s2, 0
	s_cbranch_scc0 .LBB145_4
.LBB145_2:                              ; =>This Inner Loop Header: Depth=1
	s_wait_kmcnt 0x0
	s_wait_alu 0xfffe
	v_cmp_gt_u32_e64 s0, s3, v10
	s_wait_loadcnt 0x2
	v_dual_mov_b32 v8, v2 :: v_dual_mov_b32 v7, v1
	s_wait_loadcnt 0x0
	ds_store_b64 v9, v[5:6]
	s_wait_dscnt 0x0
	s_and_b32 s1, vcc_lo, s0
	s_barrier_signal -1
	s_barrier_wait -1
	global_inv scope:SCOPE_SE
	s_wait_alu 0xfffe
	s_and_saveexec_b32 s0, s1
	s_cbranch_execz .LBB145_1
; %bb.3:                                ;   in Loop: Header=BB145_2 Depth=1
	ds_load_b64 v[7:8], v13
	s_wait_dscnt 0x0
	v_add_f64_e64 v[7:8], v[1:2], -v[7:8]
	s_branch .LBB145_1
.LBB145_4:
	v_lshlrev_b32_e32 v0, 3, v0
	s_add_nc_u64 s[0:1], s[6:7], s[4:5]
	s_clause 0x2
	global_store_b64 v0, v[1:2], s[0:1]
	global_store_b64 v0, v[3:4], s[0:1] offset:2048
	global_store_b64 v0, v[5:6], s[0:1] offset:4096
	s_endpgm
	.section	.rodata,"a",@progbits
	.p2align	6, 0x0
	.amdhsa_kernel _Z6kernelI26subtract_left_partial_tileLj256ELj3ELb0EJPdPiS1_jEEvDpT3_
		.amdhsa_group_segment_fixed_size 4096
		.amdhsa_private_segment_fixed_size 0
		.amdhsa_kernarg_size 28
		.amdhsa_user_sgpr_count 2
		.amdhsa_user_sgpr_dispatch_ptr 0
		.amdhsa_user_sgpr_queue_ptr 0
		.amdhsa_user_sgpr_kernarg_segment_ptr 1
		.amdhsa_user_sgpr_dispatch_id 0
		.amdhsa_user_sgpr_private_segment_size 0
		.amdhsa_wavefront_size32 1
		.amdhsa_uses_dynamic_stack 0
		.amdhsa_enable_private_segment 0
		.amdhsa_system_sgpr_workgroup_id_x 1
		.amdhsa_system_sgpr_workgroup_id_y 0
		.amdhsa_system_sgpr_workgroup_id_z 0
		.amdhsa_system_sgpr_workgroup_info 0
		.amdhsa_system_vgpr_workitem_id 0
		.amdhsa_next_free_vgpr 18
		.amdhsa_next_free_sgpr 12
		.amdhsa_reserve_vcc 1
		.amdhsa_float_round_mode_32 0
		.amdhsa_float_round_mode_16_64 0
		.amdhsa_float_denorm_mode_32 3
		.amdhsa_float_denorm_mode_16_64 3
		.amdhsa_fp16_overflow 0
		.amdhsa_workgroup_processor_mode 1
		.amdhsa_memory_ordered 1
		.amdhsa_forward_progress 1
		.amdhsa_inst_pref_size 5
		.amdhsa_round_robin_scheduling 0
		.amdhsa_exception_fp_ieee_invalid_op 0
		.amdhsa_exception_fp_denorm_src 0
		.amdhsa_exception_fp_ieee_div_zero 0
		.amdhsa_exception_fp_ieee_overflow 0
		.amdhsa_exception_fp_ieee_underflow 0
		.amdhsa_exception_fp_ieee_inexact 0
		.amdhsa_exception_int_div_zero 0
	.end_amdhsa_kernel
	.section	.text._Z6kernelI26subtract_left_partial_tileLj256ELj3ELb0EJPdPiS1_jEEvDpT3_,"axG",@progbits,_Z6kernelI26subtract_left_partial_tileLj256ELj3ELb0EJPdPiS1_jEEvDpT3_,comdat
.Lfunc_end145:
	.size	_Z6kernelI26subtract_left_partial_tileLj256ELj3ELb0EJPdPiS1_jEEvDpT3_, .Lfunc_end145-_Z6kernelI26subtract_left_partial_tileLj256ELj3ELb0EJPdPiS1_jEEvDpT3_
                                        ; -- End function
	.set _Z6kernelI26subtract_left_partial_tileLj256ELj3ELb0EJPdPiS1_jEEvDpT3_.num_vgpr, 18
	.set _Z6kernelI26subtract_left_partial_tileLj256ELj3ELb0EJPdPiS1_jEEvDpT3_.num_agpr, 0
	.set _Z6kernelI26subtract_left_partial_tileLj256ELj3ELb0EJPdPiS1_jEEvDpT3_.numbered_sgpr, 12
	.set _Z6kernelI26subtract_left_partial_tileLj256ELj3ELb0EJPdPiS1_jEEvDpT3_.num_named_barrier, 0
	.set _Z6kernelI26subtract_left_partial_tileLj256ELj3ELb0EJPdPiS1_jEEvDpT3_.private_seg_size, 0
	.set _Z6kernelI26subtract_left_partial_tileLj256ELj3ELb0EJPdPiS1_jEEvDpT3_.uses_vcc, 1
	.set _Z6kernelI26subtract_left_partial_tileLj256ELj3ELb0EJPdPiS1_jEEvDpT3_.uses_flat_scratch, 0
	.set _Z6kernelI26subtract_left_partial_tileLj256ELj3ELb0EJPdPiS1_jEEvDpT3_.has_dyn_sized_stack, 0
	.set _Z6kernelI26subtract_left_partial_tileLj256ELj3ELb0EJPdPiS1_jEEvDpT3_.has_recursion, 0
	.set _Z6kernelI26subtract_left_partial_tileLj256ELj3ELb0EJPdPiS1_jEEvDpT3_.has_indirect_call, 0
	.section	.AMDGPU.csdata,"",@progbits
; Kernel info:
; codeLenInByte = 588
; TotalNumSgprs: 14
; NumVgprs: 18
; ScratchSize: 0
; MemoryBound: 0
; FloatMode: 240
; IeeeMode: 1
; LDSByteSize: 4096 bytes/workgroup (compile time only)
; SGPRBlocks: 0
; VGPRBlocks: 2
; NumSGPRsForWavesPerEU: 14
; NumVGPRsForWavesPerEU: 18
; Occupancy: 16
; WaveLimiterHint : 1
; COMPUTE_PGM_RSRC2:SCRATCH_EN: 0
; COMPUTE_PGM_RSRC2:USER_SGPR: 2
; COMPUTE_PGM_RSRC2:TRAP_HANDLER: 0
; COMPUTE_PGM_RSRC2:TGID_X_EN: 1
; COMPUTE_PGM_RSRC2:TGID_Y_EN: 0
; COMPUTE_PGM_RSRC2:TGID_Z_EN: 0
; COMPUTE_PGM_RSRC2:TIDIG_COMP_CNT: 0
	.section	.text._Z6kernelI26subtract_left_partial_tileLj256ELj4ELb0EJPdPiS1_jEEvDpT3_,"axG",@progbits,_Z6kernelI26subtract_left_partial_tileLj256ELj4ELb0EJPdPiS1_jEEvDpT3_,comdat
	.protected	_Z6kernelI26subtract_left_partial_tileLj256ELj4ELb0EJPdPiS1_jEEvDpT3_ ; -- Begin function _Z6kernelI26subtract_left_partial_tileLj256ELj4ELb0EJPdPiS1_jEEvDpT3_
	.globl	_Z6kernelI26subtract_left_partial_tileLj256ELj4ELb0EJPdPiS1_jEEvDpT3_
	.p2align	8
	.type	_Z6kernelI26subtract_left_partial_tileLj256ELj4ELb0EJPdPiS1_jEEvDpT3_,@function
_Z6kernelI26subtract_left_partial_tileLj256ELj4ELb0EJPdPiS1_jEEvDpT3_: ; @_Z6kernelI26subtract_left_partial_tileLj256ELj4ELb0EJPdPiS1_jEEvDpT3_
; %bb.0:
	s_clause 0x1
	s_load_b128 s[12:15], s[0:1], 0x0
	s_load_b96 s[4:6], s[0:1], 0x10
	s_lshl_b32 s2, ttmp9, 10
	s_mov_b32 s3, 0
	v_lshlrev_b32_e32 v11, 3, v0
	s_lshl_b64 s[8:9], s[2:3], 3
	s_mov_b32 s2, ttmp9
	v_lshlrev_b32_e32 v12, 2, v0
	v_cmp_ne_u32_e32 vcc_lo, 0, v0
	v_add_nc_u32_e32 v16, -8, v11
	s_delay_alu instid0(VALU_DEP_3)
	v_or_b32_e32 v13, 3, v12
	v_or_b32_e32 v14, 2, v12
	;; [unrolled: 1-line block ×3, first 2 shown]
	s_wait_kmcnt 0x0
	s_add_nc_u64 s[0:1], s[12:13], s[8:9]
	s_clause 0x3
	global_load_b64 v[1:2], v11, s[0:1]
	global_load_b64 v[3:4], v11, s[0:1] offset:2048
	global_load_b64 v[5:6], v11, s[0:1] offset:4096
	;; [unrolled: 1-line block ×3, first 2 shown]
	s_cvt_f32_u32 s0, s6
	s_delay_alu instid0(SALU_CYCLE_3) | instskip(NEXT) | instid1(TRANS32_DEP_1)
	v_rcp_iflag_f32_e32 v9, s0
	v_readfirstlane_b32 s0, v9
	s_mul_f32 s0, s0, 0x4f7ffffe
	s_wait_alu 0xfffe
	s_delay_alu instid0(SALU_CYCLE_2) | instskip(SKIP_2) | instid1(SALU_CYCLE_1)
	s_cvt_u32_f32 s7, s0
	s_sub_co_i32 s0, 0, s6
	s_wait_alu 0xfffe
	s_mul_i32 s0, s0, s7
	s_wait_alu 0xfffe
	s_mul_hi_u32 s10, s7, s0
	s_lshl_b64 s[0:1], s[2:3], 2
	s_add_co_i32 s7, s7, s10
	s_wait_alu 0xfffe
	s_add_nc_u64 s[0:1], s[14:15], s[0:1]
	s_lshr_b32 s2, s7, 22
	s_load_b32 s3, s[0:1], 0x0
	s_mul_i32 s0, s2, s6
	s_add_co_i32 s1, s2, 1
	s_wait_alu 0xfffe
	s_sub_co_i32 s0, 0x400, s0
	s_wait_alu 0xfffe
	s_sub_co_i32 s7, s0, s6
	s_cmp_ge_u32 s0, s6
	s_cselect_b32 s1, s1, s2
	s_cselect_b32 s0, s7, s0
	s_wait_alu 0xfffe
	s_add_co_i32 s2, s1, 1
	s_cmp_ge_u32 s0, s6
	s_cselect_b32 s7, s2, s1
	s_delay_alu instid0(SALU_CYCLE_1)
	s_add_co_i32 s7, s7, 1
	s_branch .LBB146_2
.LBB146_1:                              ;   in Loop: Header=BB146_2 Depth=1
	s_wait_alu 0xfffe
	s_or_b32 exec_lo, exec_lo, s0
	v_add_f64_e64 v[17:18], v[7:8], -v[5:6]
	v_add_f64_e64 v[19:20], v[5:6], -v[3:4]
	;; [unrolled: 1-line block ×3, first 2 shown]
	v_cmp_gt_u32_e64 s0, s3, v14
	v_cmp_gt_u32_e64 s1, s3, v15
	;; [unrolled: 1-line block ×3, first 2 shown]
	v_add_f64_e32 v[1:2], v[1:2], v[9:10]
	s_add_co_i32 s6, s6, -1
	s_wait_loadcnt 0x0
	s_barrier_signal -1
	s_barrier_wait -1
	global_inv scope:SCOPE_SE
	s_wait_alu 0xf1ff
	v_cndmask_b32_e64 v18, v8, v18, s2
	v_cndmask_b32_e64 v20, v6, v20, s0
	v_cndmask_b32_e64 v22, v4, v22, s1
	v_cndmask_b32_e64 v21, v3, v21, s1
	v_cndmask_b32_e64 v19, v5, v19, s0
	v_cndmask_b32_e64 v17, v7, v17, s2
	s_add_co_i32 s0, s7, s3
	s_delay_alu instid0(VALU_DEP_3) | instskip(NEXT) | instid1(VALU_DEP_3)
	v_add_f64_e32 v[3:4], v[3:4], v[21:22]
	v_add_f64_e32 v[5:6], v[5:6], v[19:20]
	s_delay_alu instid0(VALU_DEP_3)
	v_add_f64_e32 v[7:8], v[7:8], v[17:18]
	s_wait_alu 0xfffe
	s_and_b32 s3, s0, 0x3ff
	s_cmp_lg_u32 s6, 0
	s_cbranch_scc0 .LBB146_4
.LBB146_2:                              ; =>This Inner Loop Header: Depth=1
	s_wait_kmcnt 0x0
	s_wait_alu 0xfffe
	v_cmp_gt_u32_e64 s0, s3, v12
	s_wait_loadcnt 0x3
	v_dual_mov_b32 v10, v2 :: v_dual_mov_b32 v9, v1
	s_wait_loadcnt 0x0
	ds_store_b64 v11, v[7:8]
	s_wait_dscnt 0x0
	s_and_b32 s1, vcc_lo, s0
	s_barrier_signal -1
	s_barrier_wait -1
	global_inv scope:SCOPE_SE
	s_wait_alu 0xfffe
	s_and_saveexec_b32 s0, s1
	s_cbranch_execz .LBB146_1
; %bb.3:                                ;   in Loop: Header=BB146_2 Depth=1
	ds_load_b64 v[9:10], v16
	s_wait_dscnt 0x0
	v_add_f64_e64 v[9:10], v[1:2], -v[9:10]
	s_branch .LBB146_1
.LBB146_4:
	v_lshlrev_b32_e32 v0, 3, v0
	s_add_nc_u64 s[0:1], s[4:5], s[8:9]
	s_clause 0x3
	global_store_b64 v0, v[1:2], s[0:1]
	global_store_b64 v0, v[3:4], s[0:1] offset:2048
	global_store_b64 v0, v[5:6], s[0:1] offset:4096
	;; [unrolled: 1-line block ×3, first 2 shown]
	s_endpgm
	.section	.rodata,"a",@progbits
	.p2align	6, 0x0
	.amdhsa_kernel _Z6kernelI26subtract_left_partial_tileLj256ELj4ELb0EJPdPiS1_jEEvDpT3_
		.amdhsa_group_segment_fixed_size 4096
		.amdhsa_private_segment_fixed_size 0
		.amdhsa_kernarg_size 28
		.amdhsa_user_sgpr_count 2
		.amdhsa_user_sgpr_dispatch_ptr 0
		.amdhsa_user_sgpr_queue_ptr 0
		.amdhsa_user_sgpr_kernarg_segment_ptr 1
		.amdhsa_user_sgpr_dispatch_id 0
		.amdhsa_user_sgpr_private_segment_size 0
		.amdhsa_wavefront_size32 1
		.amdhsa_uses_dynamic_stack 0
		.amdhsa_enable_private_segment 0
		.amdhsa_system_sgpr_workgroup_id_x 1
		.amdhsa_system_sgpr_workgroup_id_y 0
		.amdhsa_system_sgpr_workgroup_id_z 0
		.amdhsa_system_sgpr_workgroup_info 0
		.amdhsa_system_vgpr_workitem_id 0
		.amdhsa_next_free_vgpr 23
		.amdhsa_next_free_sgpr 16
		.amdhsa_reserve_vcc 1
		.amdhsa_float_round_mode_32 0
		.amdhsa_float_round_mode_16_64 0
		.amdhsa_float_denorm_mode_32 3
		.amdhsa_float_denorm_mode_16_64 3
		.amdhsa_fp16_overflow 0
		.amdhsa_workgroup_processor_mode 1
		.amdhsa_memory_ordered 1
		.amdhsa_forward_progress 1
		.amdhsa_inst_pref_size 5
		.amdhsa_round_robin_scheduling 0
		.amdhsa_exception_fp_ieee_invalid_op 0
		.amdhsa_exception_fp_denorm_src 0
		.amdhsa_exception_fp_ieee_div_zero 0
		.amdhsa_exception_fp_ieee_overflow 0
		.amdhsa_exception_fp_ieee_underflow 0
		.amdhsa_exception_fp_ieee_inexact 0
		.amdhsa_exception_int_div_zero 0
	.end_amdhsa_kernel
	.section	.text._Z6kernelI26subtract_left_partial_tileLj256ELj4ELb0EJPdPiS1_jEEvDpT3_,"axG",@progbits,_Z6kernelI26subtract_left_partial_tileLj256ELj4ELb0EJPdPiS1_jEEvDpT3_,comdat
.Lfunc_end146:
	.size	_Z6kernelI26subtract_left_partial_tileLj256ELj4ELb0EJPdPiS1_jEEvDpT3_, .Lfunc_end146-_Z6kernelI26subtract_left_partial_tileLj256ELj4ELb0EJPdPiS1_jEEvDpT3_
                                        ; -- End function
	.set _Z6kernelI26subtract_left_partial_tileLj256ELj4ELb0EJPdPiS1_jEEvDpT3_.num_vgpr, 23
	.set _Z6kernelI26subtract_left_partial_tileLj256ELj4ELb0EJPdPiS1_jEEvDpT3_.num_agpr, 0
	.set _Z6kernelI26subtract_left_partial_tileLj256ELj4ELb0EJPdPiS1_jEEvDpT3_.numbered_sgpr, 16
	.set _Z6kernelI26subtract_left_partial_tileLj256ELj4ELb0EJPdPiS1_jEEvDpT3_.num_named_barrier, 0
	.set _Z6kernelI26subtract_left_partial_tileLj256ELj4ELb0EJPdPiS1_jEEvDpT3_.private_seg_size, 0
	.set _Z6kernelI26subtract_left_partial_tileLj256ELj4ELb0EJPdPiS1_jEEvDpT3_.uses_vcc, 1
	.set _Z6kernelI26subtract_left_partial_tileLj256ELj4ELb0EJPdPiS1_jEEvDpT3_.uses_flat_scratch, 0
	.set _Z6kernelI26subtract_left_partial_tileLj256ELj4ELb0EJPdPiS1_jEEvDpT3_.has_dyn_sized_stack, 0
	.set _Z6kernelI26subtract_left_partial_tileLj256ELj4ELb0EJPdPiS1_jEEvDpT3_.has_recursion, 0
	.set _Z6kernelI26subtract_left_partial_tileLj256ELj4ELb0EJPdPiS1_jEEvDpT3_.has_indirect_call, 0
	.section	.AMDGPU.csdata,"",@progbits
; Kernel info:
; codeLenInByte = 632
; TotalNumSgprs: 18
; NumVgprs: 23
; ScratchSize: 0
; MemoryBound: 0
; FloatMode: 240
; IeeeMode: 1
; LDSByteSize: 4096 bytes/workgroup (compile time only)
; SGPRBlocks: 0
; VGPRBlocks: 2
; NumSGPRsForWavesPerEU: 18
; NumVGPRsForWavesPerEU: 23
; Occupancy: 16
; WaveLimiterHint : 1
; COMPUTE_PGM_RSRC2:SCRATCH_EN: 0
; COMPUTE_PGM_RSRC2:USER_SGPR: 2
; COMPUTE_PGM_RSRC2:TRAP_HANDLER: 0
; COMPUTE_PGM_RSRC2:TGID_X_EN: 1
; COMPUTE_PGM_RSRC2:TGID_Y_EN: 0
; COMPUTE_PGM_RSRC2:TGID_Z_EN: 0
; COMPUTE_PGM_RSRC2:TIDIG_COMP_CNT: 0
	.section	.text._Z6kernelI26subtract_left_partial_tileLj256ELj8ELb0EJPdPiS1_jEEvDpT3_,"axG",@progbits,_Z6kernelI26subtract_left_partial_tileLj256ELj8ELb0EJPdPiS1_jEEvDpT3_,comdat
	.protected	_Z6kernelI26subtract_left_partial_tileLj256ELj8ELb0EJPdPiS1_jEEvDpT3_ ; -- Begin function _Z6kernelI26subtract_left_partial_tileLj256ELj8ELb0EJPdPiS1_jEEvDpT3_
	.globl	_Z6kernelI26subtract_left_partial_tileLj256ELj8ELb0EJPdPiS1_jEEvDpT3_
	.p2align	8
	.type	_Z6kernelI26subtract_left_partial_tileLj256ELj8ELb0EJPdPiS1_jEEvDpT3_,@function
_Z6kernelI26subtract_left_partial_tileLj256ELj8ELb0EJPdPiS1_jEEvDpT3_: ; @_Z6kernelI26subtract_left_partial_tileLj256ELj8ELb0EJPdPiS1_jEEvDpT3_
; %bb.0:
	s_clause 0x1
	s_load_b128 s[12:15], s[0:1], 0x0
	s_load_b96 s[4:6], s[0:1], 0x10
	s_lshl_b32 s2, ttmp9, 11
	s_mov_b32 s3, 0
	v_lshlrev_b32_e32 v19, 3, v0
	s_lshl_b64 s[8:9], s[2:3], 3
	s_mov_b32 s2, ttmp9
	v_cmp_ne_u32_e32 vcc_lo, 0, v0
	s_delay_alu instid0(VALU_DEP_2)
	v_or_b32_e32 v20, 7, v19
	v_or_b32_e32 v21, 6, v19
	;; [unrolled: 1-line block ×7, first 2 shown]
	v_add_nc_u32_e32 v27, -8, v19
	s_wait_kmcnt 0x0
	s_add_nc_u64 s[0:1], s[12:13], s[8:9]
	s_mov_b32 s10, s4
	s_clause 0x7
	global_load_b64 v[15:16], v19, s[0:1]
	global_load_b64 v[13:14], v19, s[0:1] offset:2048
	global_load_b64 v[11:12], v19, s[0:1] offset:4096
	;; [unrolled: 1-line block ×7, first 2 shown]
	s_cvt_f32_u32 s0, s6
	s_sub_co_i32 s1, 0, s6
	s_mov_b32 s11, s5
	s_delay_alu instid0(SALU_CYCLE_1) | instskip(NEXT) | instid1(TRANS32_DEP_1)
	v_rcp_iflag_f32_e32 v17, s0
	v_readfirstlane_b32 s0, v17
	s_mul_f32 s0, s0, 0x4f7ffffe
	s_wait_alu 0xfffe
	s_delay_alu instid0(SALU_CYCLE_2) | instskip(SKIP_1) | instid1(SALU_CYCLE_2)
	s_cvt_u32_f32 s0, s0
	s_wait_alu 0xfffe
	s_mul_i32 s1, s1, s0
	s_wait_alu 0xfffe
	s_mul_hi_u32 s1, s0, s1
	s_wait_alu 0xfffe
	s_add_co_i32 s7, s0, s1
	s_lshl_b64 s[0:1], s[2:3], 2
	s_lshr_b32 s2, s7, 21
	s_wait_alu 0xfffe
	s_add_nc_u64 s[0:1], s[14:15], s[0:1]
	s_mul_i32 s3, s2, s6
	s_load_b32 s7, s[0:1], 0x0
	s_sub_co_i32 s0, 0x800, s3
	s_add_co_i32 s1, s2, 1
	s_wait_alu 0xfffe
	s_sub_co_i32 s3, s0, s6
	s_cmp_ge_u32 s0, s6
	s_cselect_b32 s1, s1, s2
	s_cselect_b32 s0, s3, s0
	s_wait_alu 0xfffe
	s_add_co_i32 s2, s1, 1
	s_cmp_ge_u32 s0, s6
	s_cselect_b32 s0, s2, s1
	s_wait_alu 0xfffe
	s_add_co_i32 s5, s0, 1
	s_branch .LBB147_2
.LBB147_1:                              ;   in Loop: Header=BB147_2 Depth=1
	s_wait_alu 0xfffe
	s_or_b32 exec_lo, exec_lo, s0
	v_add_f64_e64 v[28:29], v[1:2], -v[3:4]
	v_add_f64_e64 v[30:31], v[3:4], -v[5:6]
	;; [unrolled: 1-line block ×7, first 2 shown]
	v_cmp_gt_u32_e64 s0, s7, v20
	v_cmp_gt_u32_e64 s1, s7, v21
	;; [unrolled: 1-line block ×4, first 2 shown]
	v_add_f64_e32 v[15:16], v[15:16], v[17:18]
	v_cmp_gt_u32_e64 s4, s7, v24
	s_add_co_i32 s6, s6, -1
	s_wait_loadcnt 0x0
	s_barrier_signal -1
	s_barrier_wait -1
	global_inv scope:SCOPE_SE
	v_cndmask_b32_e64 v18, v2, v29, s0
	v_cndmask_b32_e64 v17, v1, v28, s0
	;; [unrolled: 1-line block ×4, first 2 shown]
	v_cmp_gt_u32_e64 s0, s7, v22
	v_cmp_gt_u32_e64 s1, s7, v23
	v_cndmask_b32_e64 v37, v10, v37, s4
	v_cndmask_b32_e64 v39, v12, v39, s2
	;; [unrolled: 1-line block ×3, first 2 shown]
	s_wait_alu 0xf1ff
	v_cndmask_b32_e64 v31, v6, v33, s0
	v_cndmask_b32_e64 v35, v8, v35, s1
	;; [unrolled: 1-line block ×7, first 2 shown]
	v_add_f64_e32 v[13:14], v[13:14], v[40:41]
	v_add_f64_e32 v[11:12], v[11:12], v[38:39]
	;; [unrolled: 1-line block ×7, first 2 shown]
	s_add_co_i32 s0, s5, s7
	s_wait_alu 0xfffe
	s_and_b32 s7, s0, 0x7ff
	s_cmp_lg_u32 s6, 0
	s_cbranch_scc0 .LBB147_4
.LBB147_2:                              ; =>This Inner Loop Header: Depth=1
	s_wait_kmcnt 0x0
	s_wait_alu 0xfffe
	v_cmp_gt_u32_e64 s0, s7, v19
	s_wait_loadcnt 0x7
	v_dual_mov_b32 v18, v16 :: v_dual_mov_b32 v17, v15
	s_wait_loadcnt 0x0
	ds_store_b64 v19, v[1:2]
	s_wait_dscnt 0x0
	s_and_b32 s1, vcc_lo, s0
	s_barrier_signal -1
	s_barrier_wait -1
	global_inv scope:SCOPE_SE
	s_wait_alu 0xfffe
	s_and_saveexec_b32 s0, s1
	s_cbranch_execz .LBB147_1
; %bb.3:                                ;   in Loop: Header=BB147_2 Depth=1
	ds_load_b64 v[17:18], v27
	s_wait_dscnt 0x0
	v_add_f64_e64 v[17:18], v[15:16], -v[17:18]
	s_branch .LBB147_1
.LBB147_4:
	v_lshlrev_b32_e32 v0, 3, v0
	s_add_nc_u64 s[0:1], s[10:11], s[8:9]
	s_clause 0x7
	global_store_b64 v0, v[15:16], s[0:1]
	global_store_b64 v0, v[13:14], s[0:1] offset:2048
	global_store_b64 v0, v[11:12], s[0:1] offset:4096
	;; [unrolled: 1-line block ×7, first 2 shown]
	s_endpgm
	.section	.rodata,"a",@progbits
	.p2align	6, 0x0
	.amdhsa_kernel _Z6kernelI26subtract_left_partial_tileLj256ELj8ELb0EJPdPiS1_jEEvDpT3_
		.amdhsa_group_segment_fixed_size 4096
		.amdhsa_private_segment_fixed_size 0
		.amdhsa_kernarg_size 28
		.amdhsa_user_sgpr_count 2
		.amdhsa_user_sgpr_dispatch_ptr 0
		.amdhsa_user_sgpr_queue_ptr 0
		.amdhsa_user_sgpr_kernarg_segment_ptr 1
		.amdhsa_user_sgpr_dispatch_id 0
		.amdhsa_user_sgpr_private_segment_size 0
		.amdhsa_wavefront_size32 1
		.amdhsa_uses_dynamic_stack 0
		.amdhsa_enable_private_segment 0
		.amdhsa_system_sgpr_workgroup_id_x 1
		.amdhsa_system_sgpr_workgroup_id_y 0
		.amdhsa_system_sgpr_workgroup_id_z 0
		.amdhsa_system_sgpr_workgroup_info 0
		.amdhsa_system_vgpr_workitem_id 0
		.amdhsa_next_free_vgpr 42
		.amdhsa_next_free_sgpr 16
		.amdhsa_reserve_vcc 1
		.amdhsa_float_round_mode_32 0
		.amdhsa_float_round_mode_16_64 0
		.amdhsa_float_denorm_mode_32 3
		.amdhsa_float_denorm_mode_16_64 3
		.amdhsa_fp16_overflow 0
		.amdhsa_workgroup_processor_mode 1
		.amdhsa_memory_ordered 1
		.amdhsa_forward_progress 1
		.amdhsa_inst_pref_size 7
		.amdhsa_round_robin_scheduling 0
		.amdhsa_exception_fp_ieee_invalid_op 0
		.amdhsa_exception_fp_denorm_src 0
		.amdhsa_exception_fp_ieee_div_zero 0
		.amdhsa_exception_fp_ieee_overflow 0
		.amdhsa_exception_fp_ieee_underflow 0
		.amdhsa_exception_fp_ieee_inexact 0
		.amdhsa_exception_int_div_zero 0
	.end_amdhsa_kernel
	.section	.text._Z6kernelI26subtract_left_partial_tileLj256ELj8ELb0EJPdPiS1_jEEvDpT3_,"axG",@progbits,_Z6kernelI26subtract_left_partial_tileLj256ELj8ELb0EJPdPiS1_jEEvDpT3_,comdat
.Lfunc_end147:
	.size	_Z6kernelI26subtract_left_partial_tileLj256ELj8ELb0EJPdPiS1_jEEvDpT3_, .Lfunc_end147-_Z6kernelI26subtract_left_partial_tileLj256ELj8ELb0EJPdPiS1_jEEvDpT3_
                                        ; -- End function
	.set _Z6kernelI26subtract_left_partial_tileLj256ELj8ELb0EJPdPiS1_jEEvDpT3_.num_vgpr, 42
	.set _Z6kernelI26subtract_left_partial_tileLj256ELj8ELb0EJPdPiS1_jEEvDpT3_.num_agpr, 0
	.set _Z6kernelI26subtract_left_partial_tileLj256ELj8ELb0EJPdPiS1_jEEvDpT3_.numbered_sgpr, 16
	.set _Z6kernelI26subtract_left_partial_tileLj256ELj8ELb0EJPdPiS1_jEEvDpT3_.num_named_barrier, 0
	.set _Z6kernelI26subtract_left_partial_tileLj256ELj8ELb0EJPdPiS1_jEEvDpT3_.private_seg_size, 0
	.set _Z6kernelI26subtract_left_partial_tileLj256ELj8ELb0EJPdPiS1_jEEvDpT3_.uses_vcc, 1
	.set _Z6kernelI26subtract_left_partial_tileLj256ELj8ELb0EJPdPiS1_jEEvDpT3_.uses_flat_scratch, 0
	.set _Z6kernelI26subtract_left_partial_tileLj256ELj8ELb0EJPdPiS1_jEEvDpT3_.has_dyn_sized_stack, 0
	.set _Z6kernelI26subtract_left_partial_tileLj256ELj8ELb0EJPdPiS1_jEEvDpT3_.has_recursion, 0
	.set _Z6kernelI26subtract_left_partial_tileLj256ELj8ELb0EJPdPiS1_jEEvDpT3_.has_indirect_call, 0
	.section	.AMDGPU.csdata,"",@progbits
; Kernel info:
; codeLenInByte = 884
; TotalNumSgprs: 18
; NumVgprs: 42
; ScratchSize: 0
; MemoryBound: 0
; FloatMode: 240
; IeeeMode: 1
; LDSByteSize: 4096 bytes/workgroup (compile time only)
; SGPRBlocks: 0
; VGPRBlocks: 5
; NumSGPRsForWavesPerEU: 18
; NumVGPRsForWavesPerEU: 42
; Occupancy: 16
; WaveLimiterHint : 1
; COMPUTE_PGM_RSRC2:SCRATCH_EN: 0
; COMPUTE_PGM_RSRC2:USER_SGPR: 2
; COMPUTE_PGM_RSRC2:TRAP_HANDLER: 0
; COMPUTE_PGM_RSRC2:TGID_X_EN: 1
; COMPUTE_PGM_RSRC2:TGID_Y_EN: 0
; COMPUTE_PGM_RSRC2:TGID_Z_EN: 0
; COMPUTE_PGM_RSRC2:TIDIG_COMP_CNT: 0
	.section	.text._Z6kernelI26subtract_left_partial_tileLj256ELj16ELb0EJPdPiS1_jEEvDpT3_,"axG",@progbits,_Z6kernelI26subtract_left_partial_tileLj256ELj16ELb0EJPdPiS1_jEEvDpT3_,comdat
	.protected	_Z6kernelI26subtract_left_partial_tileLj256ELj16ELb0EJPdPiS1_jEEvDpT3_ ; -- Begin function _Z6kernelI26subtract_left_partial_tileLj256ELj16ELb0EJPdPiS1_jEEvDpT3_
	.globl	_Z6kernelI26subtract_left_partial_tileLj256ELj16ELb0EJPdPiS1_jEEvDpT3_
	.p2align	8
	.type	_Z6kernelI26subtract_left_partial_tileLj256ELj16ELb0EJPdPiS1_jEEvDpT3_,@function
_Z6kernelI26subtract_left_partial_tileLj256ELj16ELb0EJPdPiS1_jEEvDpT3_: ; @_Z6kernelI26subtract_left_partial_tileLj256ELj16ELb0EJPdPiS1_jEEvDpT3_
; %bb.0:
	s_clause 0x1
	s_load_b128 s[4:7], s[0:1], 0x0
	s_load_b96 s[8:10], s[0:1], 0x10
	s_lshl_b32 s2, ttmp9, 12
	s_mov_b32 s3, 0
	v_lshlrev_b32_e32 v35, 3, v0
	s_lshl_b64 s[12:13], s[2:3], 3
	s_mov_b32 s2, ttmp9
	v_lshlrev_b32_e32 v36, 4, v0
	v_cmp_ne_u32_e32 vcc_lo, 0, v0
	v_add_nc_u32_e32 v52, -8, v35
	s_delay_alu instid0(VALU_DEP_3)
	v_or_b32_e32 v37, 15, v36
	v_or_b32_e32 v38, 14, v36
	;; [unrolled: 1-line block ×8, first 2 shown]
	s_wait_kmcnt 0x0
	s_add_nc_u64 s[0:1], s[4:5], s[12:13]
	v_or_b32_e32 v45, 7, v36
	s_clause 0xf
	global_load_b64 v[31:32], v35, s[0:1]
	global_load_b64 v[29:30], v35, s[0:1] offset:2048
	global_load_b64 v[27:28], v35, s[0:1] offset:4096
	;; [unrolled: 1-line block ×15, first 2 shown]
	s_cvt_f32_u32 s0, s10
	s_sub_co_i32 s1, 0, s10
	v_or_b32_e32 v46, 6, v36
	v_or_b32_e32 v47, 5, v36
	v_rcp_iflag_f32_e32 v33, s0
	v_or_b32_e32 v48, 4, v36
	v_or_b32_e32 v49, 3, v36
	;; [unrolled: 1-line block ×4, first 2 shown]
	s_mov_b32 s14, s8
	s_mov_b32 s15, s9
	s_delay_alu instid0(TRANS32_DEP_1) | instskip(SKIP_2) | instid1(SALU_CYCLE_2)
	v_readfirstlane_b32 s0, v33
	s_mul_f32 s0, s0, 0x4f7ffffe
	s_wait_alu 0xfffe
	s_cvt_u32_f32 s0, s0
	s_wait_alu 0xfffe
	s_delay_alu instid0(SALU_CYCLE_2)
	s_mul_i32 s1, s1, s0
	s_wait_alu 0xfffe
	s_mul_hi_u32 s1, s0, s1
	s_wait_alu 0xfffe
	s_add_co_i32 s4, s0, s1
	s_lshl_b64 s[0:1], s[2:3], 2
	s_lshr_b32 s2, s4, 20
	s_wait_alu 0xfffe
	s_add_nc_u64 s[0:1], s[6:7], s[0:1]
	s_mul_i32 s3, s2, s10
	s_load_b32 s11, s[0:1], 0x0
	s_sub_co_i32 s0, 0x1000, s3
	s_add_co_i32 s1, s2, 1
	s_wait_alu 0xfffe
	s_sub_co_i32 s3, s0, s10
	s_cmp_ge_u32 s0, s10
	s_cselect_b32 s1, s1, s2
	s_cselect_b32 s0, s3, s0
	s_wait_alu 0xfffe
	s_add_co_i32 s2, s1, 1
	s_cmp_ge_u32 s0, s10
	s_cselect_b32 s0, s2, s1
	s_wait_alu 0xfffe
	s_add_co_i32 s9, s0, 1
	s_branch .LBB148_2
.LBB148_1:                              ;   in Loop: Header=BB148_2 Depth=1
	s_wait_alu 0xfffe
	s_or_b32 exec_lo, exec_lo, s0
	v_add_f64_e64 v[53:54], v[1:2], -v[3:4]
	v_add_f64_e64 v[55:56], v[3:4], -v[5:6]
	;; [unrolled: 1-line block ×15, first 2 shown]
	v_cmp_gt_u32_e64 s0, s11, v37
	v_cmp_gt_u32_e64 s1, s11, v38
	v_cmp_gt_u32_e64 s2, s11, v39
	v_cmp_gt_u32_e64 s3, s11, v40
	v_cmp_gt_u32_e64 s4, s11, v41
	v_cmp_gt_u32_e64 s5, s11, v42
	v_cmp_gt_u32_e64 s6, s11, v43
	v_cmp_gt_u32_e64 s7, s11, v44
	v_cmp_gt_u32_e64 s8, s11, v45
	v_add_f64_e32 v[31:32], v[31:32], v[33:34]
	s_add_co_i32 s10, s10, -1
	s_wait_loadcnt 0x0
	s_barrier_signal -1
	s_barrier_wait -1
	global_inv scope:SCOPE_SE
	v_cndmask_b32_e64 v54, v2, v54, s0
	v_cndmask_b32_e64 v53, v1, v53, s0
	;; [unrolled: 1-line block ×4, first 2 shown]
	v_cmp_gt_u32_e64 s0, s11, v46
	v_cmp_gt_u32_e64 s1, s11, v47
	v_cndmask_b32_e64 v58, v6, v58, s2
	v_cndmask_b32_e64 v57, v5, v57, s2
	;; [unrolled: 1-line block ×4, first 2 shown]
	s_wait_alu 0xf1ff
	v_cndmask_b32_e64 v72, v20, v72, s0
	v_cndmask_b32_e64 v71, v19, v71, s0
	;; [unrolled: 1-line block ×4, first 2 shown]
	v_cmp_gt_u32_e64 s0, s11, v48
	v_cmp_gt_u32_e64 s1, s11, v50
	;; [unrolled: 1-line block ×4, first 2 shown]
	v_cndmask_b32_e64 v62, v10, v62, s4
	v_cndmask_b32_e64 v61, v9, v61, s4
	;; [unrolled: 1-line block ×10, first 2 shown]
	s_wait_alu 0xf1ff
	v_cndmask_b32_e64 v76, v24, v76, s0
	v_cndmask_b32_e64 v78, v26, v78, s3
	v_cndmask_b32_e64 v80, v28, v80, s1
	v_cndmask_b32_e64 v82, v30, v82, s2
	v_cndmask_b32_e64 v81, v29, v81, s2
	v_cndmask_b32_e64 v79, v27, v79, s1
	v_cndmask_b32_e64 v77, v25, v77, s3
	v_cndmask_b32_e64 v75, v23, v75, s0
	v_add_f64_e32 v[21:22], v[21:22], v[73:74]
	v_add_f64_e32 v[29:30], v[29:30], v[81:82]
	;; [unrolled: 1-line block ×15, first 2 shown]
	s_add_co_i32 s0, s9, s11
	s_wait_alu 0xfffe
	s_and_b32 s11, s0, 0xfff
	s_cmp_lg_u32 s10, 0
	s_cbranch_scc0 .LBB148_4
.LBB148_2:                              ; =>This Inner Loop Header: Depth=1
	s_wait_kmcnt 0x0
	s_wait_alu 0xfffe
	v_cmp_gt_u32_e64 s0, s11, v36
	s_wait_loadcnt 0xf
	v_dual_mov_b32 v34, v32 :: v_dual_mov_b32 v33, v31
	s_wait_loadcnt 0x0
	ds_store_b64 v35, v[1:2]
	s_wait_dscnt 0x0
	s_and_b32 s1, vcc_lo, s0
	s_barrier_signal -1
	s_barrier_wait -1
	global_inv scope:SCOPE_SE
	s_wait_alu 0xfffe
	s_and_saveexec_b32 s0, s1
	s_cbranch_execz .LBB148_1
; %bb.3:                                ;   in Loop: Header=BB148_2 Depth=1
	ds_load_b64 v[33:34], v52
	s_wait_dscnt 0x0
	v_add_f64_e64 v[33:34], v[31:32], -v[33:34]
	s_branch .LBB148_1
.LBB148_4:
	v_lshlrev_b32_e32 v0, 3, v0
	s_add_nc_u64 s[0:1], s[14:15], s[12:13]
	s_clause 0xf
	global_store_b64 v0, v[31:32], s[0:1]
	global_store_b64 v0, v[29:30], s[0:1] offset:2048
	global_store_b64 v0, v[27:28], s[0:1] offset:4096
	;; [unrolled: 1-line block ×15, first 2 shown]
	s_endpgm
	.section	.rodata,"a",@progbits
	.p2align	6, 0x0
	.amdhsa_kernel _Z6kernelI26subtract_left_partial_tileLj256ELj16ELb0EJPdPiS1_jEEvDpT3_
		.amdhsa_group_segment_fixed_size 4096
		.amdhsa_private_segment_fixed_size 0
		.amdhsa_kernarg_size 28
		.amdhsa_user_sgpr_count 2
		.amdhsa_user_sgpr_dispatch_ptr 0
		.amdhsa_user_sgpr_queue_ptr 0
		.amdhsa_user_sgpr_kernarg_segment_ptr 1
		.amdhsa_user_sgpr_dispatch_id 0
		.amdhsa_user_sgpr_private_segment_size 0
		.amdhsa_wavefront_size32 1
		.amdhsa_uses_dynamic_stack 0
		.amdhsa_enable_private_segment 0
		.amdhsa_system_sgpr_workgroup_id_x 1
		.amdhsa_system_sgpr_workgroup_id_y 0
		.amdhsa_system_sgpr_workgroup_id_z 0
		.amdhsa_system_sgpr_workgroup_info 0
		.amdhsa_system_vgpr_workitem_id 0
		.amdhsa_next_free_vgpr 83
		.amdhsa_next_free_sgpr 16
		.amdhsa_reserve_vcc 1
		.amdhsa_float_round_mode_32 0
		.amdhsa_float_round_mode_16_64 0
		.amdhsa_float_denorm_mode_32 3
		.amdhsa_float_denorm_mode_16_64 3
		.amdhsa_fp16_overflow 0
		.amdhsa_workgroup_processor_mode 1
		.amdhsa_memory_ordered 1
		.amdhsa_forward_progress 1
		.amdhsa_inst_pref_size 11
		.amdhsa_round_robin_scheduling 0
		.amdhsa_exception_fp_ieee_invalid_op 0
		.amdhsa_exception_fp_denorm_src 0
		.amdhsa_exception_fp_ieee_div_zero 0
		.amdhsa_exception_fp_ieee_overflow 0
		.amdhsa_exception_fp_ieee_underflow 0
		.amdhsa_exception_fp_ieee_inexact 0
		.amdhsa_exception_int_div_zero 0
	.end_amdhsa_kernel
	.section	.text._Z6kernelI26subtract_left_partial_tileLj256ELj16ELb0EJPdPiS1_jEEvDpT3_,"axG",@progbits,_Z6kernelI26subtract_left_partial_tileLj256ELj16ELb0EJPdPiS1_jEEvDpT3_,comdat
.Lfunc_end148:
	.size	_Z6kernelI26subtract_left_partial_tileLj256ELj16ELb0EJPdPiS1_jEEvDpT3_, .Lfunc_end148-_Z6kernelI26subtract_left_partial_tileLj256ELj16ELb0EJPdPiS1_jEEvDpT3_
                                        ; -- End function
	.set _Z6kernelI26subtract_left_partial_tileLj256ELj16ELb0EJPdPiS1_jEEvDpT3_.num_vgpr, 83
	.set _Z6kernelI26subtract_left_partial_tileLj256ELj16ELb0EJPdPiS1_jEEvDpT3_.num_agpr, 0
	.set _Z6kernelI26subtract_left_partial_tileLj256ELj16ELb0EJPdPiS1_jEEvDpT3_.numbered_sgpr, 16
	.set _Z6kernelI26subtract_left_partial_tileLj256ELj16ELb0EJPdPiS1_jEEvDpT3_.num_named_barrier, 0
	.set _Z6kernelI26subtract_left_partial_tileLj256ELj16ELb0EJPdPiS1_jEEvDpT3_.private_seg_size, 0
	.set _Z6kernelI26subtract_left_partial_tileLj256ELj16ELb0EJPdPiS1_jEEvDpT3_.uses_vcc, 1
	.set _Z6kernelI26subtract_left_partial_tileLj256ELj16ELb0EJPdPiS1_jEEvDpT3_.uses_flat_scratch, 0
	.set _Z6kernelI26subtract_left_partial_tileLj256ELj16ELb0EJPdPiS1_jEEvDpT3_.has_dyn_sized_stack, 0
	.set _Z6kernelI26subtract_left_partial_tileLj256ELj16ELb0EJPdPiS1_jEEvDpT3_.has_recursion, 0
	.set _Z6kernelI26subtract_left_partial_tileLj256ELj16ELb0EJPdPiS1_jEEvDpT3_.has_indirect_call, 0
	.section	.AMDGPU.csdata,"",@progbits
; Kernel info:
; codeLenInByte = 1404
; TotalNumSgprs: 18
; NumVgprs: 83
; ScratchSize: 0
; MemoryBound: 0
; FloatMode: 240
; IeeeMode: 1
; LDSByteSize: 4096 bytes/workgroup (compile time only)
; SGPRBlocks: 0
; VGPRBlocks: 10
; NumSGPRsForWavesPerEU: 18
; NumVGPRsForWavesPerEU: 83
; Occupancy: 16
; WaveLimiterHint : 1
; COMPUTE_PGM_RSRC2:SCRATCH_EN: 0
; COMPUTE_PGM_RSRC2:USER_SGPR: 2
; COMPUTE_PGM_RSRC2:TRAP_HANDLER: 0
; COMPUTE_PGM_RSRC2:TGID_X_EN: 1
; COMPUTE_PGM_RSRC2:TGID_Y_EN: 0
; COMPUTE_PGM_RSRC2:TGID_Z_EN: 0
; COMPUTE_PGM_RSRC2:TIDIG_COMP_CNT: 0
	.section	.text._Z6kernelI26subtract_left_partial_tileLj256ELj32ELb0EJPdPiS1_jEEvDpT3_,"axG",@progbits,_Z6kernelI26subtract_left_partial_tileLj256ELj32ELb0EJPdPiS1_jEEvDpT3_,comdat
	.protected	_Z6kernelI26subtract_left_partial_tileLj256ELj32ELb0EJPdPiS1_jEEvDpT3_ ; -- Begin function _Z6kernelI26subtract_left_partial_tileLj256ELj32ELb0EJPdPiS1_jEEvDpT3_
	.globl	_Z6kernelI26subtract_left_partial_tileLj256ELj32ELb0EJPdPiS1_jEEvDpT3_
	.p2align	8
	.type	_Z6kernelI26subtract_left_partial_tileLj256ELj32ELb0EJPdPiS1_jEEvDpT3_,@function
_Z6kernelI26subtract_left_partial_tileLj256ELj32ELb0EJPdPiS1_jEEvDpT3_: ; @_Z6kernelI26subtract_left_partial_tileLj256ELj32ELb0EJPdPiS1_jEEvDpT3_
; %bb.0:
	s_clause 0x1
	s_load_b128 s[4:7], s[0:1], 0x0
	s_load_b96 s[8:10], s[0:1], 0x10
	s_lshl_b32 s2, ttmp9, 13
	s_mov_b32 s3, 0
	v_lshlrev_b32_e32 v67, 3, v0
	s_lshl_b64 s[12:13], s[2:3], 3
	s_mov_b32 s2, ttmp9
	v_lshlrev_b32_e32 v68, 5, v0
	v_cmp_ne_u32_e32 vcc_lo, 0, v0
	v_add_nc_u32_e32 v80, -8, v67
	s_delay_alu instid0(VALU_DEP_3)
	v_or_b32_e32 v69, 11, v68
	v_or_b32_e32 v70, 10, v68
	;; [unrolled: 1-line block ×8, first 2 shown]
	s_wait_kmcnt 0x0
	s_add_nc_u64 s[0:1], s[4:5], s[12:13]
	v_or_b32_e32 v77, 3, v68
	s_clause 0x1f
	global_load_b64 v[63:64], v67, s[0:1]
	global_load_b64 v[61:62], v67, s[0:1] offset:2048
	global_load_b64 v[59:60], v67, s[0:1] offset:4096
	;; [unrolled: 1-line block ×31, first 2 shown]
	s_cvt_f32_u32 s0, s10
	s_sub_co_i32 s1, 0, s10
	v_or_b32_e32 v78, 2, v68
	v_or_b32_e32 v79, 1, v68
	v_rcp_iflag_f32_e32 v65, s0
	s_mov_b32 s14, s8
	s_mov_b32 s15, s9
	s_delay_alu instid0(TRANS32_DEP_1) | instskip(SKIP_2) | instid1(SALU_CYCLE_2)
	v_readfirstlane_b32 s0, v65
	s_mul_f32 s0, s0, 0x4f7ffffe
	s_wait_alu 0xfffe
	s_cvt_u32_f32 s0, s0
	s_wait_alu 0xfffe
	s_delay_alu instid0(SALU_CYCLE_2)
	s_mul_i32 s1, s1, s0
	s_wait_alu 0xfffe
	s_mul_hi_u32 s1, s0, s1
	s_wait_alu 0xfffe
	s_add_co_i32 s0, s0, s1
	s_wait_alu 0xfffe
	s_lshr_b32 s4, s0, 19
	s_lshl_b64 s[0:1], s[2:3], 2
	s_mul_i32 s2, s4, s10
	s_wait_alu 0xfffe
	s_add_nc_u64 s[0:1], s[6:7], s[0:1]
	s_sub_co_i32 s2, 0x2000, s2
	s_load_b32 s11, s[0:1], 0x0
	s_add_co_i32 s3, s4, 1
	s_sub_co_i32 s5, s2, s10
	s_cmp_ge_u32 s2, s10
	s_cselect_b32 s3, s3, s4
	s_cselect_b32 s2, s5, s2
	s_add_co_i32 s0, s3, 1
	s_cmp_ge_u32 s2, s10
	s_wait_alu 0xfffe
	s_cselect_b32 s0, s0, s3
	s_wait_alu 0xfffe
	s_add_co_i32 s9, s0, 1
	s_branch .LBB149_2
.LBB149_1:                              ;   in Loop: Header=BB149_2 Depth=1
	s_wait_alu 0xfffe
	s_or_b32 exec_lo, exec_lo, s0
	v_add_f64_e64 v[81:82], v[1:2], -v[3:4]
	v_add_f64_e64 v[83:84], v[3:4], -v[5:6]
	;; [unrolled: 1-line block ×6, first 2 shown]
	v_or_b32_e32 v115, 31, v68
	v_or_b32_e32 v116, 30, v68
	v_add_f64_e64 v[105:106], v[25:26], -v[27:28]
	v_add_f64_e64 v[107:108], v[27:28], -v[29:30]
	;; [unrolled: 1-line block ×3, first 2 shown]
	v_or_b32_e32 v117, 29, v68
	v_add_f64_e64 v[111:112], v[31:32], -v[33:34]
	v_cmp_gt_u32_e64 s0, s11, v115
	v_cmp_gt_u32_e64 s1, s11, v116
	v_add_f64_e64 v[115:116], v[35:36], -v[37:38]
	v_or_b32_e32 v118, 28, v68
	v_or_b32_e32 v121, 25, v68
	v_cmp_gt_u32_e64 s2, s11, v117
	v_or_b32_e32 v117, 22, v68
	v_or_b32_e32 v119, 27, v68
	;; [unrolled: 1-line block ×3, first 2 shown]
	v_cmp_gt_u32_e64 s3, s11, v118
	v_cmp_gt_u32_e64 s6, s11, v121
	v_or_b32_e32 v121, 19, v68
	v_or_b32_e32 v120, 26, v68
	;; [unrolled: 1-line block ×3, first 2 shown]
	v_cmp_gt_u32_e64 s4, s11, v119
	v_cmp_gt_u32_e64 s7, s11, v122
	v_or_b32_e32 v119, 21, v68
	v_cmp_gt_u32_e64 s5, s11, v120
	v_cmp_gt_u32_e64 s8, s11, v123
	v_or_b32_e32 v123, 20, v68
	v_or_b32_e32 v124, 18, v68
	v_add_f64_e64 v[125:126], v[45:46], -v[47:48]
	v_or_b32_e32 v127, 17, v68
	v_add_f64_e64 v[129:130], v[49:50], -v[51:52]
	v_or_b32_e32 v131, 16, v68
	s_wait_alu 0xf1ff
	v_cndmask_b32_e64 v82, v2, v82, s0
	v_cndmask_b32_e64 v81, v1, v81, s0
	v_cmp_gt_u32_e64 s0, s11, v117
	v_add_f64_e64 v[117:118], v[37:38], -v[39:40]
	v_cndmask_b32_e64 v84, v4, v84, s1
	v_cndmask_b32_e64 v83, v3, v83, s1
	v_cmp_gt_u32_e64 s1, s11, v121
	v_add_f64_e64 v[121:122], v[41:42], -v[43:44]
	s_wait_alu 0xf1ff
	v_cndmask_b32_e64 v100, v20, v100, s0
	v_cndmask_b32_e64 v99, v19, v99, s0
	v_cmp_gt_u32_e64 s0, s11, v119
	v_add_f64_e64 v[119:120], v[39:40], -v[41:42]
	v_cndmask_b32_e64 v86, v6, v86, s2
	v_cndmask_b32_e64 v85, v5, v85, s2
	v_cmp_gt_u32_e64 s2, s11, v124
	s_wait_alu 0xf1ff
	v_cndmask_b32_e64 v102, v22, v102, s0
	v_cndmask_b32_e64 v101, v21, v101, s0
	v_cmp_gt_u32_e64 s0, s11, v123
	v_add_f64_e64 v[123:124], v[43:44], -v[45:46]
	v_or_b32_e32 v132, 15, v68
	v_add_f64_e64 v[133:134], v[53:54], -v[55:56]
	v_or_b32_e32 v137, 14, v68
	s_wait_alu 0xf1ff
	v_cndmask_b32_e64 v104, v24, v104, s0
	v_cndmask_b32_e64 v103, v23, v103, s0
	v_cmp_gt_u32_e64 s0, s11, v127
	v_add_f64_e64 v[127:128], v[47:48], -v[49:50]
	v_add_f64_e64 v[113:114], v[33:34], -v[35:36]
	v_cndmask_b32_e64 v106, v26, v106, s1
	v_cndmask_b32_e64 v105, v25, v105, s1
	;; [unrolled: 1-line block ×3, first 2 shown]
	v_cmp_gt_u32_e64 s1, s11, v131
	v_cndmask_b32_e64 v107, v27, v107, s2
	v_cmp_gt_u32_e64 s2, s11, v132
	v_add_f64_e64 v[131:132], v[51:52], -v[53:54]
	s_wait_alu 0xf1ff
	v_cndmask_b32_e64 v110, v30, v110, s0
	v_cndmask_b32_e64 v109, v29, v109, s0
	v_cmp_gt_u32_e64 s0, s11, v137
	v_add_f64_e64 v[137:138], v[61:62], -v[63:64]
	v_or_b32_e32 v141, 13, v68
	v_or_b32_e32 v142, 12, v68
	v_add_f64_e64 v[87:88], v[7:8], -v[9:10]
	v_add_f64_e64 v[89:90], v[9:10], -v[11:12]
	;; [unrolled: 1-line block ×6, first 2 shown]
	v_cndmask_b32_e64 v112, v32, v112, s1
	v_add_f64_e64 v[135:136], v[57:58], -v[59:60]
	v_cndmask_b32_e64 v111, v31, v111, s1
	s_wait_alu 0xf1ff
	v_cndmask_b32_e64 v116, v36, v116, s0
	v_cndmask_b32_e64 v115, v35, v115, s0
	v_add_f64_e64 v[139:140], v[59:60], -v[61:62]
	v_cmp_gt_u32_e64 s0, s11, v141
	v_cmp_gt_u32_e64 s1, s11, v142
	v_add_f64_e64 v[141:142], v[55:56], -v[57:58]
	v_add_f64_e32 v[63:64], v[63:64], v[65:66]
	v_add_f64_e32 v[35:36], v[35:36], v[115:116]
	s_wait_alu 0xf1ff
	v_cndmask_b32_e64 v118, v38, v118, s0
	v_cndmask_b32_e64 v117, v37, v117, s0
	v_cmp_gt_u32_e64 s0, s11, v69
	v_cndmask_b32_e64 v120, v40, v120, s1
	v_cndmask_b32_e64 v119, v39, v119, s1
	v_cmp_gt_u32_e64 s1, s11, v70
	v_add_f64_e32 v[37:38], v[37:38], v[117:118]
	s_wait_alu 0xf1ff
	v_cndmask_b32_e64 v122, v42, v122, s0
	v_cndmask_b32_e64 v121, v41, v121, s0
	v_cmp_gt_u32_e64 s0, s11, v71
	v_cndmask_b32_e64 v124, v44, v124, s1
	v_cndmask_b32_e64 v123, v43, v123, s1
	v_cmp_gt_u32_e64 s1, s11, v72
	v_cndmask_b32_e64 v114, v34, v114, s2
	s_wait_alu 0xf1ff
	v_cndmask_b32_e64 v126, v46, v126, s0
	v_cndmask_b32_e64 v125, v45, v125, s0
	v_cmp_gt_u32_e64 s0, s11, v73
	v_cndmask_b32_e64 v128, v48, v128, s1
	v_cndmask_b32_e64 v127, v47, v127, s1
	v_cmp_gt_u32_e64 s1, s11, v74
	v_cndmask_b32_e64 v113, v33, v113, s2
	s_wait_alu 0xf1ff
	v_cndmask_b32_e64 v130, v50, v130, s0
	v_cndmask_b32_e64 v129, v49, v129, s0
	v_cmp_gt_u32_e64 s0, s11, v75
	v_cndmask_b32_e64 v132, v52, v132, s1
	v_cmp_gt_u32_e64 s2, s11, v77
	;; [unrolled: 2-line block ×3, first 2 shown]
	s_wait_alu 0xf1ff
	v_cndmask_b32_e64 v134, v54, v134, s0
	v_cndmask_b32_e64 v133, v53, v133, s0
	v_cmp_gt_u32_e64 s0, s11, v79
	v_cndmask_b32_e64 v88, v8, v88, s3
	v_cndmask_b32_e64 v87, v7, v87, s3
	v_cndmask_b32_e64 v90, v10, v90, s4
	v_cndmask_b32_e64 v89, v9, v89, s4
	s_wait_alu 0xf1ff
	v_cndmask_b32_e64 v138, v62, v138, s0
	v_cndmask_b32_e64 v137, v61, v137, s0
	v_cmp_gt_u32_e64 s0, s11, v76
	v_cndmask_b32_e64 v92, v12, v92, s5
	v_cndmask_b32_e64 v91, v11, v91, s5
	;; [unrolled: 1-line block ×12, first 2 shown]
	s_wait_alu 0xf1ff
	v_cndmask_b32_e64 v142, v56, v142, s0
	v_cndmask_b32_e64 v141, v55, v141, s0
	v_add_f64_e32 v[61:62], v[61:62], v[137:138]
	v_add_f64_e32 v[57:58], v[57:58], v[135:136]
	;; [unrolled: 1-line block ×29, first 2 shown]
	s_add_co_i32 s0, s9, s11
	s_add_co_i32 s10, s10, -1
	s_wait_alu 0xfffe
	s_and_b32 s11, s0, 0x1fff
	s_cmp_lg_u32 s10, 0
	s_wait_loadcnt 0x0
	s_barrier_signal -1
	s_barrier_wait -1
	global_inv scope:SCOPE_SE
	s_cbranch_scc0 .LBB149_4
.LBB149_2:                              ; =>This Inner Loop Header: Depth=1
	s_wait_kmcnt 0x0
	s_wait_alu 0xfffe
	v_cmp_gt_u32_e64 s0, s11, v68
	s_wait_loadcnt 0x1f
	v_dual_mov_b32 v66, v64 :: v_dual_mov_b32 v65, v63
	s_wait_loadcnt 0x0
	ds_store_b64 v67, v[1:2]
	s_wait_dscnt 0x0
	s_and_b32 s1, vcc_lo, s0
	s_barrier_signal -1
	s_barrier_wait -1
	global_inv scope:SCOPE_SE
	s_wait_alu 0xfffe
	s_and_saveexec_b32 s0, s1
	s_cbranch_execz .LBB149_1
; %bb.3:                                ;   in Loop: Header=BB149_2 Depth=1
	ds_load_b64 v[65:66], v80
	s_wait_dscnt 0x0
	v_add_f64_e64 v[65:66], v[63:64], -v[65:66]
	s_branch .LBB149_1
.LBB149_4:
	v_lshlrev_b32_e32 v0, 3, v0
	s_add_nc_u64 s[0:1], s[14:15], s[12:13]
	s_clause 0x1f
	global_store_b64 v0, v[63:64], s[0:1]
	global_store_b64 v0, v[61:62], s[0:1] offset:2048
	global_store_b64 v0, v[59:60], s[0:1] offset:4096
	;; [unrolled: 1-line block ×31, first 2 shown]
	s_nop 0
	s_sendmsg sendmsg(MSG_DEALLOC_VGPRS)
	s_endpgm
	.section	.rodata,"a",@progbits
	.p2align	6, 0x0
	.amdhsa_kernel _Z6kernelI26subtract_left_partial_tileLj256ELj32ELb0EJPdPiS1_jEEvDpT3_
		.amdhsa_group_segment_fixed_size 4096
		.amdhsa_private_segment_fixed_size 0
		.amdhsa_kernarg_size 28
		.amdhsa_user_sgpr_count 2
		.amdhsa_user_sgpr_dispatch_ptr 0
		.amdhsa_user_sgpr_queue_ptr 0
		.amdhsa_user_sgpr_kernarg_segment_ptr 1
		.amdhsa_user_sgpr_dispatch_id 0
		.amdhsa_user_sgpr_private_segment_size 0
		.amdhsa_wavefront_size32 1
		.amdhsa_uses_dynamic_stack 0
		.amdhsa_enable_private_segment 0
		.amdhsa_system_sgpr_workgroup_id_x 1
		.amdhsa_system_sgpr_workgroup_id_y 0
		.amdhsa_system_sgpr_workgroup_id_z 0
		.amdhsa_system_sgpr_workgroup_info 0
		.amdhsa_system_vgpr_workitem_id 0
		.amdhsa_next_free_vgpr 143
		.amdhsa_next_free_sgpr 16
		.amdhsa_reserve_vcc 1
		.amdhsa_float_round_mode_32 0
		.amdhsa_float_round_mode_16_64 0
		.amdhsa_float_denorm_mode_32 3
		.amdhsa_float_denorm_mode_16_64 3
		.amdhsa_fp16_overflow 0
		.amdhsa_workgroup_processor_mode 1
		.amdhsa_memory_ordered 1
		.amdhsa_forward_progress 1
		.amdhsa_inst_pref_size 20
		.amdhsa_round_robin_scheduling 0
		.amdhsa_exception_fp_ieee_invalid_op 0
		.amdhsa_exception_fp_denorm_src 0
		.amdhsa_exception_fp_ieee_div_zero 0
		.amdhsa_exception_fp_ieee_overflow 0
		.amdhsa_exception_fp_ieee_underflow 0
		.amdhsa_exception_fp_ieee_inexact 0
		.amdhsa_exception_int_div_zero 0
	.end_amdhsa_kernel
	.section	.text._Z6kernelI26subtract_left_partial_tileLj256ELj32ELb0EJPdPiS1_jEEvDpT3_,"axG",@progbits,_Z6kernelI26subtract_left_partial_tileLj256ELj32ELb0EJPdPiS1_jEEvDpT3_,comdat
.Lfunc_end149:
	.size	_Z6kernelI26subtract_left_partial_tileLj256ELj32ELb0EJPdPiS1_jEEvDpT3_, .Lfunc_end149-_Z6kernelI26subtract_left_partial_tileLj256ELj32ELb0EJPdPiS1_jEEvDpT3_
                                        ; -- End function
	.set _Z6kernelI26subtract_left_partial_tileLj256ELj32ELb0EJPdPiS1_jEEvDpT3_.num_vgpr, 143
	.set _Z6kernelI26subtract_left_partial_tileLj256ELj32ELb0EJPdPiS1_jEEvDpT3_.num_agpr, 0
	.set _Z6kernelI26subtract_left_partial_tileLj256ELj32ELb0EJPdPiS1_jEEvDpT3_.numbered_sgpr, 16
	.set _Z6kernelI26subtract_left_partial_tileLj256ELj32ELb0EJPdPiS1_jEEvDpT3_.num_named_barrier, 0
	.set _Z6kernelI26subtract_left_partial_tileLj256ELj32ELb0EJPdPiS1_jEEvDpT3_.private_seg_size, 0
	.set _Z6kernelI26subtract_left_partial_tileLj256ELj32ELb0EJPdPiS1_jEEvDpT3_.uses_vcc, 1
	.set _Z6kernelI26subtract_left_partial_tileLj256ELj32ELb0EJPdPiS1_jEEvDpT3_.uses_flat_scratch, 0
	.set _Z6kernelI26subtract_left_partial_tileLj256ELj32ELb0EJPdPiS1_jEEvDpT3_.has_dyn_sized_stack, 0
	.set _Z6kernelI26subtract_left_partial_tileLj256ELj32ELb0EJPdPiS1_jEEvDpT3_.has_recursion, 0
	.set _Z6kernelI26subtract_left_partial_tileLj256ELj32ELb0EJPdPiS1_jEEvDpT3_.has_indirect_call, 0
	.section	.AMDGPU.csdata,"",@progbits
; Kernel info:
; codeLenInByte = 2480
; TotalNumSgprs: 18
; NumVgprs: 143
; ScratchSize: 0
; MemoryBound: 0
; FloatMode: 240
; IeeeMode: 1
; LDSByteSize: 4096 bytes/workgroup (compile time only)
; SGPRBlocks: 0
; VGPRBlocks: 17
; NumSGPRsForWavesPerEU: 18
; NumVGPRsForWavesPerEU: 143
; Occupancy: 10
; WaveLimiterHint : 1
; COMPUTE_PGM_RSRC2:SCRATCH_EN: 0
; COMPUTE_PGM_RSRC2:USER_SGPR: 2
; COMPUTE_PGM_RSRC2:TRAP_HANDLER: 0
; COMPUTE_PGM_RSRC2:TGID_X_EN: 1
; COMPUTE_PGM_RSRC2:TGID_Y_EN: 0
; COMPUTE_PGM_RSRC2:TGID_Z_EN: 0
; COMPUTE_PGM_RSRC2:TIDIG_COMP_CNT: 0
	.section	.text._Z6kernelI26subtract_left_partial_tileLj256ELj1ELb1EJPiS1_S1_jEEvDpT3_,"axG",@progbits,_Z6kernelI26subtract_left_partial_tileLj256ELj1ELb1EJPiS1_S1_jEEvDpT3_,comdat
	.protected	_Z6kernelI26subtract_left_partial_tileLj256ELj1ELb1EJPiS1_S1_jEEvDpT3_ ; -- Begin function _Z6kernelI26subtract_left_partial_tileLj256ELj1ELb1EJPiS1_S1_jEEvDpT3_
	.globl	_Z6kernelI26subtract_left_partial_tileLj256ELj1ELb1EJPiS1_S1_jEEvDpT3_
	.p2align	8
	.type	_Z6kernelI26subtract_left_partial_tileLj256ELj1ELb1EJPiS1_S1_jEEvDpT3_,@function
_Z6kernelI26subtract_left_partial_tileLj256ELj1ELb1EJPiS1_S1_jEEvDpT3_: ; @_Z6kernelI26subtract_left_partial_tileLj256ELj1ELb1EJPiS1_S1_jEEvDpT3_
; %bb.0:
	s_load_b128 s[8:11], s[0:1], 0x0
	s_lshl_b32 s6, ttmp9, 8
	s_mov_b32 s7, 0
	v_lshlrev_b32_e32 v1, 2, v0
	s_lshl_b64 s[4:5], s[6:7], 2
	s_load_b96 s[0:2], s[0:1], 0x10
	v_cmp_ne_u32_e32 vcc_lo, 0, v0
	s_wait_kmcnt 0x0
	s_add_nc_u64 s[8:9], s[8:9], s[4:5]
	global_load_b32 v2, v1, s[8:9]
	s_cvt_f32_u32 s3, s2
	s_sub_co_i32 s6, 0, s2
	s_delay_alu instid0(SALU_CYCLE_2) | instskip(NEXT) | instid1(TRANS32_DEP_1)
	v_rcp_iflag_f32_e32 v3, s3
	v_readfirstlane_b32 s3, v3
	v_add_nc_u32_e32 v3, -4, v1
	s_mul_f32 s3, s3, 0x4f7ffffe
	s_wait_alu 0xfffe
	s_delay_alu instid0(SALU_CYCLE_2) | instskip(SKIP_1) | instid1(SALU_CYCLE_2)
	s_cvt_u32_f32 s3, s3
	s_wait_alu 0xfffe
	s_mul_i32 s8, s6, s3
	s_mov_b32 s6, ttmp9
	s_mul_hi_u32 s8, s3, s8
	s_lshl_b64 s[6:7], s[6:7], 2
	s_add_co_i32 s8, s3, s8
	s_add_nc_u64 s[6:7], s[10:11], s[6:7]
	s_load_b32 s3, s[6:7], 0x0
	s_lshr_b32 s7, s8, 24
	s_delay_alu instid0(SALU_CYCLE_1)
	s_mul_i32 s6, s7, s2
	s_add_co_i32 s9, s7, 1
	s_sub_co_i32 s8, 0x100, s6
	s_mov_b32 s6, s0
	s_sub_co_i32 s10, s8, s2
	s_cmp_ge_u32 s8, s2
	s_cselect_b32 s0, s9, s7
	s_cselect_b32 s7, s10, s8
	s_add_co_i32 s8, s0, 1
	s_cmp_ge_u32 s7, s2
	s_mov_b32 s7, s1
	s_cselect_b32 s0, s8, s0
	s_delay_alu instid0(SALU_CYCLE_1)
	s_add_co_i32 s1, s0, 1
	s_branch .LBB150_2
.LBB150_1:                              ;   in Loop: Header=BB150_2 Depth=1
	s_wait_alu 0xfffe
	s_or_b32 exec_lo, exec_lo, s0
	s_wait_kmcnt 0x0
	v_cmp_gt_u32_e64 s0, s3, v0
	v_lshlrev_b32_e32 v2, 1, v2
	s_add_co_i32 s2, s2, -1
	s_wait_loadcnt_dscnt 0x0
	s_barrier_signal -1
	v_cndmask_b32_e64 v4, 0, v4, s0
	s_add_co_i32 s0, s1, s3
	s_barrier_wait -1
	s_wait_alu 0xfffe
	s_and_b32 s3, s0, 0xff
	s_cmp_lg_u32 s2, 0
	v_sub_nc_u32_e32 v2, v2, v4
	global_inv scope:SCOPE_SE
	s_cbranch_scc0 .LBB150_4
.LBB150_2:                              ; =>This Inner Loop Header: Depth=1
	v_mov_b32_e32 v4, 0x7b
	s_wait_loadcnt 0x0
	ds_store_b32 v1, v2
	s_wait_dscnt 0x0
	s_barrier_signal -1
	s_barrier_wait -1
	global_inv scope:SCOPE_SE
	s_and_saveexec_b32 s0, vcc_lo
	s_cbranch_execz .LBB150_1
; %bb.3:                                ;   in Loop: Header=BB150_2 Depth=1
	ds_load_b32 v4, v3
	s_branch .LBB150_1
.LBB150_4:
	v_lshlrev_b32_e32 v0, 2, v0
	s_add_nc_u64 s[0:1], s[6:7], s[4:5]
	global_store_b32 v0, v2, s[0:1]
	s_endpgm
	.section	.rodata,"a",@progbits
	.p2align	6, 0x0
	.amdhsa_kernel _Z6kernelI26subtract_left_partial_tileLj256ELj1ELb1EJPiS1_S1_jEEvDpT3_
		.amdhsa_group_segment_fixed_size 2048
		.amdhsa_private_segment_fixed_size 0
		.amdhsa_kernarg_size 28
		.amdhsa_user_sgpr_count 2
		.amdhsa_user_sgpr_dispatch_ptr 0
		.amdhsa_user_sgpr_queue_ptr 0
		.amdhsa_user_sgpr_kernarg_segment_ptr 1
		.amdhsa_user_sgpr_dispatch_id 0
		.amdhsa_user_sgpr_private_segment_size 0
		.amdhsa_wavefront_size32 1
		.amdhsa_uses_dynamic_stack 0
		.amdhsa_enable_private_segment 0
		.amdhsa_system_sgpr_workgroup_id_x 1
		.amdhsa_system_sgpr_workgroup_id_y 0
		.amdhsa_system_sgpr_workgroup_id_z 0
		.amdhsa_system_sgpr_workgroup_info 0
		.amdhsa_system_vgpr_workitem_id 0
		.amdhsa_next_free_vgpr 5
		.amdhsa_next_free_sgpr 12
		.amdhsa_reserve_vcc 1
		.amdhsa_float_round_mode_32 0
		.amdhsa_float_round_mode_16_64 0
		.amdhsa_float_denorm_mode_32 3
		.amdhsa_float_denorm_mode_16_64 3
		.amdhsa_fp16_overflow 0
		.amdhsa_workgroup_processor_mode 1
		.amdhsa_memory_ordered 1
		.amdhsa_forward_progress 1
		.amdhsa_inst_pref_size 3
		.amdhsa_round_robin_scheduling 0
		.amdhsa_exception_fp_ieee_invalid_op 0
		.amdhsa_exception_fp_denorm_src 0
		.amdhsa_exception_fp_ieee_div_zero 0
		.amdhsa_exception_fp_ieee_overflow 0
		.amdhsa_exception_fp_ieee_underflow 0
		.amdhsa_exception_fp_ieee_inexact 0
		.amdhsa_exception_int_div_zero 0
	.end_amdhsa_kernel
	.section	.text._Z6kernelI26subtract_left_partial_tileLj256ELj1ELb1EJPiS1_S1_jEEvDpT3_,"axG",@progbits,_Z6kernelI26subtract_left_partial_tileLj256ELj1ELb1EJPiS1_S1_jEEvDpT3_,comdat
.Lfunc_end150:
	.size	_Z6kernelI26subtract_left_partial_tileLj256ELj1ELb1EJPiS1_S1_jEEvDpT3_, .Lfunc_end150-_Z6kernelI26subtract_left_partial_tileLj256ELj1ELb1EJPiS1_S1_jEEvDpT3_
                                        ; -- End function
	.set _Z6kernelI26subtract_left_partial_tileLj256ELj1ELb1EJPiS1_S1_jEEvDpT3_.num_vgpr, 5
	.set _Z6kernelI26subtract_left_partial_tileLj256ELj1ELb1EJPiS1_S1_jEEvDpT3_.num_agpr, 0
	.set _Z6kernelI26subtract_left_partial_tileLj256ELj1ELb1EJPiS1_S1_jEEvDpT3_.numbered_sgpr, 12
	.set _Z6kernelI26subtract_left_partial_tileLj256ELj1ELb1EJPiS1_S1_jEEvDpT3_.num_named_barrier, 0
	.set _Z6kernelI26subtract_left_partial_tileLj256ELj1ELb1EJPiS1_S1_jEEvDpT3_.private_seg_size, 0
	.set _Z6kernelI26subtract_left_partial_tileLj256ELj1ELb1EJPiS1_S1_jEEvDpT3_.uses_vcc, 1
	.set _Z6kernelI26subtract_left_partial_tileLj256ELj1ELb1EJPiS1_S1_jEEvDpT3_.uses_flat_scratch, 0
	.set _Z6kernelI26subtract_left_partial_tileLj256ELj1ELb1EJPiS1_S1_jEEvDpT3_.has_dyn_sized_stack, 0
	.set _Z6kernelI26subtract_left_partial_tileLj256ELj1ELb1EJPiS1_S1_jEEvDpT3_.has_recursion, 0
	.set _Z6kernelI26subtract_left_partial_tileLj256ELj1ELb1EJPiS1_S1_jEEvDpT3_.has_indirect_call, 0
	.section	.AMDGPU.csdata,"",@progbits
; Kernel info:
; codeLenInByte = 384
; TotalNumSgprs: 14
; NumVgprs: 5
; ScratchSize: 0
; MemoryBound: 0
; FloatMode: 240
; IeeeMode: 1
; LDSByteSize: 2048 bytes/workgroup (compile time only)
; SGPRBlocks: 0
; VGPRBlocks: 0
; NumSGPRsForWavesPerEU: 14
; NumVGPRsForWavesPerEU: 5
; Occupancy: 16
; WaveLimiterHint : 0
; COMPUTE_PGM_RSRC2:SCRATCH_EN: 0
; COMPUTE_PGM_RSRC2:USER_SGPR: 2
; COMPUTE_PGM_RSRC2:TRAP_HANDLER: 0
; COMPUTE_PGM_RSRC2:TGID_X_EN: 1
; COMPUTE_PGM_RSRC2:TGID_Y_EN: 0
; COMPUTE_PGM_RSRC2:TGID_Z_EN: 0
; COMPUTE_PGM_RSRC2:TIDIG_COMP_CNT: 0
	.section	.text._Z6kernelI26subtract_left_partial_tileLj256ELj3ELb1EJPiS1_S1_jEEvDpT3_,"axG",@progbits,_Z6kernelI26subtract_left_partial_tileLj256ELj3ELb1EJPiS1_S1_jEEvDpT3_,comdat
	.protected	_Z6kernelI26subtract_left_partial_tileLj256ELj3ELb1EJPiS1_S1_jEEvDpT3_ ; -- Begin function _Z6kernelI26subtract_left_partial_tileLj256ELj3ELb1EJPiS1_S1_jEEvDpT3_
	.globl	_Z6kernelI26subtract_left_partial_tileLj256ELj3ELb1EJPiS1_S1_jEEvDpT3_
	.p2align	8
	.type	_Z6kernelI26subtract_left_partial_tileLj256ELj3ELb1EJPiS1_S1_jEEvDpT3_,@function
_Z6kernelI26subtract_left_partial_tileLj256ELj3ELb1EJPiS1_S1_jEEvDpT3_: ; @_Z6kernelI26subtract_left_partial_tileLj256ELj3ELb1EJPiS1_S1_jEEvDpT3_
; %bb.0:
	s_load_b128 s[8:11], s[0:1], 0x0
	s_mul_i32 s6, ttmp9, 0x300
	s_mov_b32 s7, 0
	v_lshlrev_b32_e32 v4, 2, v0
	s_lshl_b64 s[4:5], s[6:7], 2
	s_load_b96 s[0:2], s[0:1], 0x10
	v_mad_u32_u24 v6, v0, 3, 2
	v_mad_u32_u24 v7, v0, 3, 1
	v_add_nc_u32_e32 v8, -4, v4
	v_cmp_ne_u32_e32 vcc_lo, 0, v0
	s_wait_kmcnt 0x0
	s_add_nc_u64 s[8:9], s[8:9], s[4:5]
	s_clause 0x2
	global_load_b32 v1, v4, s[8:9]
	global_load_b32 v2, v4, s[8:9] offset:1024
	global_load_b32 v3, v4, s[8:9] offset:2048
	s_cvt_f32_u32 s3, s2
	s_sub_co_i32 s6, 0, s2
	s_delay_alu instid0(SALU_CYCLE_2) | instskip(NEXT) | instid1(TRANS32_DEP_1)
	v_rcp_iflag_f32_e32 v5, s3
	v_readfirstlane_b32 s3, v5
	v_mul_u32_u24_e32 v5, 3, v0
	s_mul_f32 s3, s3, 0x4f7ffffe
	s_wait_alu 0xfffe
	s_delay_alu instid0(SALU_CYCLE_2) | instskip(SKIP_1) | instid1(SALU_CYCLE_2)
	s_cvt_u32_f32 s3, s3
	s_wait_alu 0xfffe
	s_mul_i32 s6, s6, s3
	s_delay_alu instid0(SALU_CYCLE_1)
	s_mul_hi_u32 s8, s3, s6
	s_mov_b32 s6, ttmp9
	s_add_co_i32 s3, s3, s8
	s_lshl_b64 s[6:7], s[6:7], 2
	s_wait_alu 0xfffe
	s_mul_hi_u32 s8, s3, 0x300
	s_add_nc_u64 s[6:7], s[10:11], s[6:7]
	s_add_co_i32 s9, s8, 1
	s_load_b32 s3, s[6:7], 0x0
	s_mul_i32 s6, s8, s2
	s_delay_alu instid0(SALU_CYCLE_1)
	s_sub_co_i32 s7, 0x300, s6
	s_mov_b32 s6, s0
	s_sub_co_i32 s10, s7, s2
	s_cmp_ge_u32 s7, s2
	s_cselect_b32 s0, s9, s8
	s_cselect_b32 s7, s10, s7
	s_add_co_i32 s8, s0, 1
	s_cmp_ge_u32 s7, s2
	s_mov_b32 s7, s1
	s_cselect_b32 s0, s8, s0
	s_delay_alu instid0(SALU_CYCLE_1)
	s_add_co_i32 s1, s0, 1
	s_branch .LBB151_2
.LBB151_1:                              ;   in Loop: Header=BB151_2 Depth=1
	s_wait_alu 0xfffe
	s_or_b32 exec_lo, exec_lo, s0
	s_wait_kmcnt 0x0
	v_cmp_gt_u32_e64 s0, s3, v5
	v_sub_nc_u32_e32 v10, v2, v1
	v_sub_nc_u32_e32 v11, v3, v2
	s_add_co_i32 s8, s1, s3
	s_add_co_i32 s2, s2, -1
	s_wait_dscnt 0x0
	v_cndmask_b32_e64 v9, 0, v9, s0
	v_cmp_gt_u32_e64 s0, s3, v7
	s_wait_loadcnt 0x0
	s_barrier_signal -1
	s_barrier_wait -1
	v_sub_nc_u32_e32 v9, v1, v9
	s_wait_alu 0xf1ff
	v_cndmask_b32_e64 v10, v2, v10, s0
	v_cmp_gt_u32_e64 s0, s3, v6
	global_inv scope:SCOPE_SE
	v_add_nc_u32_e32 v1, v9, v1
	v_add_nc_u32_e32 v2, v10, v2
	s_wait_alu 0xf1ff
	v_cndmask_b32_e64 v11, v3, v11, s0
	s_mul_hi_u32 s0, s8, 0xaaaaaaab
	s_wait_alu 0xfffe
	s_lshr_b32 s0, s0, 9
	s_wait_alu 0xfffe
	s_mulk_i32 s0, 0x300
	v_add_nc_u32_e32 v3, v11, v3
	s_wait_alu 0xfffe
	s_sub_co_i32 s3, s8, s0
	s_cmp_lg_u32 s2, 0
	s_cbranch_scc0 .LBB151_4
.LBB151_2:                              ; =>This Inner Loop Header: Depth=1
	v_mov_b32_e32 v9, 0x7b
	s_wait_loadcnt 0x0
	ds_store_b32 v4, v3
	s_wait_dscnt 0x0
	s_barrier_signal -1
	s_barrier_wait -1
	global_inv scope:SCOPE_SE
	s_and_saveexec_b32 s0, vcc_lo
	s_cbranch_execz .LBB151_1
; %bb.3:                                ;   in Loop: Header=BB151_2 Depth=1
	ds_load_b32 v9, v8
	s_branch .LBB151_1
.LBB151_4:
	v_lshlrev_b32_e32 v0, 2, v0
	s_add_nc_u64 s[0:1], s[6:7], s[4:5]
	s_clause 0x2
	global_store_b32 v0, v1, s[0:1]
	global_store_b32 v0, v2, s[0:1] offset:1024
	global_store_b32 v0, v3, s[0:1] offset:2048
	s_endpgm
	.section	.rodata,"a",@progbits
	.p2align	6, 0x0
	.amdhsa_kernel _Z6kernelI26subtract_left_partial_tileLj256ELj3ELb1EJPiS1_S1_jEEvDpT3_
		.amdhsa_group_segment_fixed_size 2048
		.amdhsa_private_segment_fixed_size 0
		.amdhsa_kernarg_size 28
		.amdhsa_user_sgpr_count 2
		.amdhsa_user_sgpr_dispatch_ptr 0
		.amdhsa_user_sgpr_queue_ptr 0
		.amdhsa_user_sgpr_kernarg_segment_ptr 1
		.amdhsa_user_sgpr_dispatch_id 0
		.amdhsa_user_sgpr_private_segment_size 0
		.amdhsa_wavefront_size32 1
		.amdhsa_uses_dynamic_stack 0
		.amdhsa_enable_private_segment 0
		.amdhsa_system_sgpr_workgroup_id_x 1
		.amdhsa_system_sgpr_workgroup_id_y 0
		.amdhsa_system_sgpr_workgroup_id_z 0
		.amdhsa_system_sgpr_workgroup_info 0
		.amdhsa_system_vgpr_workitem_id 0
		.amdhsa_next_free_vgpr 12
		.amdhsa_next_free_sgpr 12
		.amdhsa_reserve_vcc 1
		.amdhsa_float_round_mode_32 0
		.amdhsa_float_round_mode_16_64 0
		.amdhsa_float_denorm_mode_32 3
		.amdhsa_float_denorm_mode_16_64 3
		.amdhsa_fp16_overflow 0
		.amdhsa_workgroup_processor_mode 1
		.amdhsa_memory_ordered 1
		.amdhsa_forward_progress 1
		.amdhsa_inst_pref_size 5
		.amdhsa_round_robin_scheduling 0
		.amdhsa_exception_fp_ieee_invalid_op 0
		.amdhsa_exception_fp_denorm_src 0
		.amdhsa_exception_fp_ieee_div_zero 0
		.amdhsa_exception_fp_ieee_overflow 0
		.amdhsa_exception_fp_ieee_underflow 0
		.amdhsa_exception_fp_ieee_inexact 0
		.amdhsa_exception_int_div_zero 0
	.end_amdhsa_kernel
	.section	.text._Z6kernelI26subtract_left_partial_tileLj256ELj3ELb1EJPiS1_S1_jEEvDpT3_,"axG",@progbits,_Z6kernelI26subtract_left_partial_tileLj256ELj3ELb1EJPiS1_S1_jEEvDpT3_,comdat
.Lfunc_end151:
	.size	_Z6kernelI26subtract_left_partial_tileLj256ELj3ELb1EJPiS1_S1_jEEvDpT3_, .Lfunc_end151-_Z6kernelI26subtract_left_partial_tileLj256ELj3ELb1EJPiS1_S1_jEEvDpT3_
                                        ; -- End function
	.set _Z6kernelI26subtract_left_partial_tileLj256ELj3ELb1EJPiS1_S1_jEEvDpT3_.num_vgpr, 12
	.set _Z6kernelI26subtract_left_partial_tileLj256ELj3ELb1EJPiS1_S1_jEEvDpT3_.num_agpr, 0
	.set _Z6kernelI26subtract_left_partial_tileLj256ELj3ELb1EJPiS1_S1_jEEvDpT3_.numbered_sgpr, 12
	.set _Z6kernelI26subtract_left_partial_tileLj256ELj3ELb1EJPiS1_S1_jEEvDpT3_.num_named_barrier, 0
	.set _Z6kernelI26subtract_left_partial_tileLj256ELj3ELb1EJPiS1_S1_jEEvDpT3_.private_seg_size, 0
	.set _Z6kernelI26subtract_left_partial_tileLj256ELj3ELb1EJPiS1_S1_jEEvDpT3_.uses_vcc, 1
	.set _Z6kernelI26subtract_left_partial_tileLj256ELj3ELb1EJPiS1_S1_jEEvDpT3_.uses_flat_scratch, 0
	.set _Z6kernelI26subtract_left_partial_tileLj256ELj3ELb1EJPiS1_S1_jEEvDpT3_.has_dyn_sized_stack, 0
	.set _Z6kernelI26subtract_left_partial_tileLj256ELj3ELb1EJPiS1_S1_jEEvDpT3_.has_recursion, 0
	.set _Z6kernelI26subtract_left_partial_tileLj256ELj3ELb1EJPiS1_S1_jEEvDpT3_.has_indirect_call, 0
	.section	.AMDGPU.csdata,"",@progbits
; Kernel info:
; codeLenInByte = 556
; TotalNumSgprs: 14
; NumVgprs: 12
; ScratchSize: 0
; MemoryBound: 0
; FloatMode: 240
; IeeeMode: 1
; LDSByteSize: 2048 bytes/workgroup (compile time only)
; SGPRBlocks: 0
; VGPRBlocks: 1
; NumSGPRsForWavesPerEU: 14
; NumVGPRsForWavesPerEU: 12
; Occupancy: 16
; WaveLimiterHint : 1
; COMPUTE_PGM_RSRC2:SCRATCH_EN: 0
; COMPUTE_PGM_RSRC2:USER_SGPR: 2
; COMPUTE_PGM_RSRC2:TRAP_HANDLER: 0
; COMPUTE_PGM_RSRC2:TGID_X_EN: 1
; COMPUTE_PGM_RSRC2:TGID_Y_EN: 0
; COMPUTE_PGM_RSRC2:TGID_Z_EN: 0
; COMPUTE_PGM_RSRC2:TIDIG_COMP_CNT: 0
	.section	.text._Z6kernelI26subtract_left_partial_tileLj256ELj4ELb1EJPiS1_S1_jEEvDpT3_,"axG",@progbits,_Z6kernelI26subtract_left_partial_tileLj256ELj4ELb1EJPiS1_S1_jEEvDpT3_,comdat
	.protected	_Z6kernelI26subtract_left_partial_tileLj256ELj4ELb1EJPiS1_S1_jEEvDpT3_ ; -- Begin function _Z6kernelI26subtract_left_partial_tileLj256ELj4ELb1EJPiS1_S1_jEEvDpT3_
	.globl	_Z6kernelI26subtract_left_partial_tileLj256ELj4ELb1EJPiS1_S1_jEEvDpT3_
	.p2align	8
	.type	_Z6kernelI26subtract_left_partial_tileLj256ELj4ELb1EJPiS1_S1_jEEvDpT3_,@function
_Z6kernelI26subtract_left_partial_tileLj256ELj4ELb1EJPiS1_S1_jEEvDpT3_: ; @_Z6kernelI26subtract_left_partial_tileLj256ELj4ELb1EJPiS1_S1_jEEvDpT3_
; %bb.0:
	s_load_b128 s[8:11], s[0:1], 0x0
	s_lshl_b32 s6, ttmp9, 10
	s_mov_b32 s7, 0
	v_lshlrev_b32_e32 v5, 2, v0
	s_lshl_b64 s[4:5], s[6:7], 2
	s_load_b96 s[0:2], s[0:1], 0x10
	v_cmp_ne_u32_e32 vcc_lo, 0, v0
	s_delay_alu instid0(VALU_DEP_2)
	v_or_b32_e32 v7, 2, v5
	v_or_b32_e32 v8, 1, v5
	v_add_nc_u32_e32 v9, -4, v5
	s_wait_kmcnt 0x0
	s_add_nc_u64 s[8:9], s[8:9], s[4:5]
	s_clause 0x3
	global_load_b32 v1, v5, s[8:9]
	global_load_b32 v2, v5, s[8:9] offset:1024
	global_load_b32 v3, v5, s[8:9] offset:2048
	;; [unrolled: 1-line block ×3, first 2 shown]
	s_cvt_f32_u32 s3, s2
	s_sub_co_i32 s6, 0, s2
	s_delay_alu instid0(SALU_CYCLE_2) | instskip(NEXT) | instid1(TRANS32_DEP_1)
	v_rcp_iflag_f32_e32 v6, s3
	v_readfirstlane_b32 s3, v6
	v_or_b32_e32 v6, 3, v5
	s_mul_f32 s3, s3, 0x4f7ffffe
	s_wait_alu 0xfffe
	s_delay_alu instid0(SALU_CYCLE_2) | instskip(SKIP_1) | instid1(SALU_CYCLE_2)
	s_cvt_u32_f32 s3, s3
	s_wait_alu 0xfffe
	s_mul_i32 s6, s6, s3
	s_delay_alu instid0(SALU_CYCLE_1)
	s_mul_hi_u32 s8, s3, s6
	s_mov_b32 s6, ttmp9
	s_add_co_i32 s3, s3, s8
	s_lshl_b64 s[6:7], s[6:7], 2
	s_wait_alu 0xfffe
	s_lshr_b32 s8, s3, 22
	s_add_nc_u64 s[6:7], s[10:11], s[6:7]
	s_add_co_i32 s9, s8, 1
	s_load_b32 s3, s[6:7], 0x0
	s_mul_i32 s6, s8, s2
	s_delay_alu instid0(SALU_CYCLE_1)
	s_sub_co_i32 s7, 0x400, s6
	s_mov_b32 s6, s0
	s_sub_co_i32 s10, s7, s2
	s_cmp_ge_u32 s7, s2
	s_cselect_b32 s0, s9, s8
	s_cselect_b32 s7, s10, s7
	s_add_co_i32 s8, s0, 1
	s_cmp_ge_u32 s7, s2
	s_mov_b32 s7, s1
	s_cselect_b32 s0, s8, s0
	s_delay_alu instid0(SALU_CYCLE_1)
	s_add_co_i32 s1, s0, 1
	s_branch .LBB152_2
.LBB152_1:                              ;   in Loop: Header=BB152_2 Depth=1
	s_wait_alu 0xfffe
	s_or_b32 exec_lo, exec_lo, s0
	s_wait_kmcnt 0x0
	v_cmp_gt_u32_e64 s0, s3, v5
	v_sub_nc_u32_e32 v11, v2, v1
	v_sub_nc_u32_e32 v13, v3, v2
	v_sub_nc_u32_e32 v12, v4, v3
	s_add_co_i32 s2, s2, -1
	s_wait_dscnt 0x0
	v_cndmask_b32_e64 v10, 0, v10, s0
	v_cmp_gt_u32_e64 s0, s3, v8
	s_wait_loadcnt 0x0
	s_barrier_signal -1
	s_barrier_wait -1
	v_sub_nc_u32_e32 v10, v1, v10
	s_wait_alu 0xf1ff
	v_cndmask_b32_e64 v11, v2, v11, s0
	v_cmp_gt_u32_e64 s0, s3, v7
	global_inv scope:SCOPE_SE
	v_add_nc_u32_e32 v1, v10, v1
	v_add_nc_u32_e32 v2, v11, v2
	s_wait_alu 0xf1ff
	v_cndmask_b32_e64 v13, v3, v13, s0
	v_cmp_gt_u32_e64 s0, s3, v6
	s_delay_alu instid0(VALU_DEP_2) | instskip(SKIP_1) | instid1(VALU_DEP_2)
	v_add_nc_u32_e32 v3, v13, v3
	s_wait_alu 0xf1ff
	v_cndmask_b32_e64 v12, v4, v12, s0
	s_add_co_i32 s0, s1, s3
	s_wait_alu 0xfffe
	s_and_b32 s3, s0, 0x3ff
	s_cmp_lg_u32 s2, 0
	v_add_nc_u32_e32 v4, v12, v4
	s_cbranch_scc0 .LBB152_4
.LBB152_2:                              ; =>This Inner Loop Header: Depth=1
	v_mov_b32_e32 v10, 0x7b
	s_wait_loadcnt 0x0
	ds_store_b32 v5, v4
	s_wait_dscnt 0x0
	s_barrier_signal -1
	s_barrier_wait -1
	global_inv scope:SCOPE_SE
	s_and_saveexec_b32 s0, vcc_lo
	s_cbranch_execz .LBB152_1
; %bb.3:                                ;   in Loop: Header=BB152_2 Depth=1
	ds_load_b32 v10, v9
	s_branch .LBB152_1
.LBB152_4:
	v_lshlrev_b32_e32 v0, 2, v0
	s_add_nc_u64 s[0:1], s[6:7], s[4:5]
	s_clause 0x3
	global_store_b32 v0, v1, s[0:1]
	global_store_b32 v0, v2, s[0:1] offset:1024
	global_store_b32 v0, v3, s[0:1] offset:2048
	;; [unrolled: 1-line block ×3, first 2 shown]
	s_endpgm
	.section	.rodata,"a",@progbits
	.p2align	6, 0x0
	.amdhsa_kernel _Z6kernelI26subtract_left_partial_tileLj256ELj4ELb1EJPiS1_S1_jEEvDpT3_
		.amdhsa_group_segment_fixed_size 2048
		.amdhsa_private_segment_fixed_size 0
		.amdhsa_kernarg_size 28
		.amdhsa_user_sgpr_count 2
		.amdhsa_user_sgpr_dispatch_ptr 0
		.amdhsa_user_sgpr_queue_ptr 0
		.amdhsa_user_sgpr_kernarg_segment_ptr 1
		.amdhsa_user_sgpr_dispatch_id 0
		.amdhsa_user_sgpr_private_segment_size 0
		.amdhsa_wavefront_size32 1
		.amdhsa_uses_dynamic_stack 0
		.amdhsa_enable_private_segment 0
		.amdhsa_system_sgpr_workgroup_id_x 1
		.amdhsa_system_sgpr_workgroup_id_y 0
		.amdhsa_system_sgpr_workgroup_id_z 0
		.amdhsa_system_sgpr_workgroup_info 0
		.amdhsa_system_vgpr_workitem_id 0
		.amdhsa_next_free_vgpr 14
		.amdhsa_next_free_sgpr 12
		.amdhsa_reserve_vcc 1
		.amdhsa_float_round_mode_32 0
		.amdhsa_float_round_mode_16_64 0
		.amdhsa_float_denorm_mode_32 3
		.amdhsa_float_denorm_mode_16_64 3
		.amdhsa_fp16_overflow 0
		.amdhsa_workgroup_processor_mode 1
		.amdhsa_memory_ordered 1
		.amdhsa_forward_progress 1
		.amdhsa_inst_pref_size 5
		.amdhsa_round_robin_scheduling 0
		.amdhsa_exception_fp_ieee_invalid_op 0
		.amdhsa_exception_fp_denorm_src 0
		.amdhsa_exception_fp_ieee_div_zero 0
		.amdhsa_exception_fp_ieee_overflow 0
		.amdhsa_exception_fp_ieee_underflow 0
		.amdhsa_exception_fp_ieee_inexact 0
		.amdhsa_exception_int_div_zero 0
	.end_amdhsa_kernel
	.section	.text._Z6kernelI26subtract_left_partial_tileLj256ELj4ELb1EJPiS1_S1_jEEvDpT3_,"axG",@progbits,_Z6kernelI26subtract_left_partial_tileLj256ELj4ELb1EJPiS1_S1_jEEvDpT3_,comdat
.Lfunc_end152:
	.size	_Z6kernelI26subtract_left_partial_tileLj256ELj4ELb1EJPiS1_S1_jEEvDpT3_, .Lfunc_end152-_Z6kernelI26subtract_left_partial_tileLj256ELj4ELb1EJPiS1_S1_jEEvDpT3_
                                        ; -- End function
	.set _Z6kernelI26subtract_left_partial_tileLj256ELj4ELb1EJPiS1_S1_jEEvDpT3_.num_vgpr, 14
	.set _Z6kernelI26subtract_left_partial_tileLj256ELj4ELb1EJPiS1_S1_jEEvDpT3_.num_agpr, 0
	.set _Z6kernelI26subtract_left_partial_tileLj256ELj4ELb1EJPiS1_S1_jEEvDpT3_.numbered_sgpr, 12
	.set _Z6kernelI26subtract_left_partial_tileLj256ELj4ELb1EJPiS1_S1_jEEvDpT3_.num_named_barrier, 0
	.set _Z6kernelI26subtract_left_partial_tileLj256ELj4ELb1EJPiS1_S1_jEEvDpT3_.private_seg_size, 0
	.set _Z6kernelI26subtract_left_partial_tileLj256ELj4ELb1EJPiS1_S1_jEEvDpT3_.uses_vcc, 1
	.set _Z6kernelI26subtract_left_partial_tileLj256ELj4ELb1EJPiS1_S1_jEEvDpT3_.uses_flat_scratch, 0
	.set _Z6kernelI26subtract_left_partial_tileLj256ELj4ELb1EJPiS1_S1_jEEvDpT3_.has_dyn_sized_stack, 0
	.set _Z6kernelI26subtract_left_partial_tileLj256ELj4ELb1EJPiS1_S1_jEEvDpT3_.has_recursion, 0
	.set _Z6kernelI26subtract_left_partial_tileLj256ELj4ELb1EJPiS1_S1_jEEvDpT3_.has_indirect_call, 0
	.section	.AMDGPU.csdata,"",@progbits
; Kernel info:
; codeLenInByte = 580
; TotalNumSgprs: 14
; NumVgprs: 14
; ScratchSize: 0
; MemoryBound: 0
; FloatMode: 240
; IeeeMode: 1
; LDSByteSize: 2048 bytes/workgroup (compile time only)
; SGPRBlocks: 0
; VGPRBlocks: 1
; NumSGPRsForWavesPerEU: 14
; NumVGPRsForWavesPerEU: 14
; Occupancy: 16
; WaveLimiterHint : 1
; COMPUTE_PGM_RSRC2:SCRATCH_EN: 0
; COMPUTE_PGM_RSRC2:USER_SGPR: 2
; COMPUTE_PGM_RSRC2:TRAP_HANDLER: 0
; COMPUTE_PGM_RSRC2:TGID_X_EN: 1
; COMPUTE_PGM_RSRC2:TGID_Y_EN: 0
; COMPUTE_PGM_RSRC2:TGID_Z_EN: 0
; COMPUTE_PGM_RSRC2:TIDIG_COMP_CNT: 0
	.section	.text._Z6kernelI26subtract_left_partial_tileLj256ELj8ELb1EJPiS1_S1_jEEvDpT3_,"axG",@progbits,_Z6kernelI26subtract_left_partial_tileLj256ELj8ELb1EJPiS1_S1_jEEvDpT3_,comdat
	.protected	_Z6kernelI26subtract_left_partial_tileLj256ELj8ELb1EJPiS1_S1_jEEvDpT3_ ; -- Begin function _Z6kernelI26subtract_left_partial_tileLj256ELj8ELb1EJPiS1_S1_jEEvDpT3_
	.globl	_Z6kernelI26subtract_left_partial_tileLj256ELj8ELb1EJPiS1_S1_jEEvDpT3_
	.p2align	8
	.type	_Z6kernelI26subtract_left_partial_tileLj256ELj8ELb1EJPiS1_S1_jEEvDpT3_,@function
_Z6kernelI26subtract_left_partial_tileLj256ELj8ELb1EJPiS1_S1_jEEvDpT3_: ; @_Z6kernelI26subtract_left_partial_tileLj256ELj8ELb1EJPiS1_S1_jEEvDpT3_
; %bb.0:
	s_load_b128 s[8:11], s[0:1], 0x0
	s_lshl_b32 s12, ttmp9, 11
	s_mov_b32 s13, 0
	v_lshlrev_b32_e32 v9, 2, v0
	s_lshl_b64 s[4:5], s[12:13], 2
	s_load_b96 s[0:2], s[0:1], 0x10
	s_mov_b32 s12, ttmp9
	v_cmp_ne_u32_e32 vcc_lo, 0, v0
	v_add_nc_u32_e32 v18, -4, v9
	s_wait_kmcnt 0x0
	s_add_nc_u64 s[6:7], s[8:9], s[4:5]
	s_lshl_b64 s[8:9], s[12:13], 2
	s_clause 0x7
	global_load_b32 v1, v9, s[6:7]
	global_load_b32 v2, v9, s[6:7] offset:1024
	global_load_b32 v3, v9, s[6:7] offset:2048
	;; [unrolled: 1-line block ×7, first 2 shown]
	s_add_nc_u64 s[8:9], s[10:11], s[8:9]
	s_cvt_f32_u32 s3, s2
	s_sub_co_i32 s6, 0, s2
	s_delay_alu instid0(SALU_CYCLE_2) | instskip(NEXT) | instid1(TRANS32_DEP_1)
	v_rcp_iflag_f32_e32 v10, s3
	v_readfirstlane_b32 s3, v10
	v_lshlrev_b32_e32 v10, 3, v0
	s_mul_f32 s3, s3, 0x4f7ffffe
	s_delay_alu instid0(VALU_DEP_1)
	v_or_b32_e32 v11, 7, v10
	v_or_b32_e32 v12, 6, v10
	;; [unrolled: 1-line block ×3, first 2 shown]
	s_wait_alu 0xfffe
	s_cvt_u32_f32 s3, s3
	v_or_b32_e32 v14, 4, v10
	v_or_b32_e32 v15, 3, v10
	;; [unrolled: 1-line block ×3, first 2 shown]
	s_wait_alu 0xfffe
	s_mul_i32 s6, s6, s3
	v_or_b32_e32 v17, 1, v10
	s_mul_hi_u32 s7, s3, s6
	s_mov_b32 s6, s0
	s_add_co_i32 s3, s3, s7
	s_wait_alu 0xfffe
	s_lshr_b32 s0, s3, 21
	s_load_b32 s3, s[8:9], 0x0
	s_mul_i32 s7, s0, s2
	s_add_co_i32 s8, s0, 1
	s_sub_co_i32 s7, 0x800, s7
	s_delay_alu instid0(SALU_CYCLE_1)
	s_sub_co_i32 s9, s7, s2
	s_cmp_ge_u32 s7, s2
	s_cselect_b32 s0, s8, s0
	s_cselect_b32 s7, s9, s7
	s_add_co_i32 s8, s0, 1
	s_cmp_ge_u32 s7, s2
	s_mov_b32 s7, s1
	s_cselect_b32 s0, s8, s0
	s_delay_alu instid0(SALU_CYCLE_1)
	s_add_co_i32 s1, s0, 1
	s_branch .LBB153_2
.LBB153_1:                              ;   in Loop: Header=BB153_2 Depth=1
	s_wait_alu 0xfffe
	s_or_b32 exec_lo, exec_lo, s0
	s_wait_kmcnt 0x0
	v_cmp_gt_u32_e64 s0, s3, v11
	s_add_co_i32 s2, s2, -1
	s_wait_loadcnt_dscnt 0x0
	s_barrier_signal -1
	s_barrier_wait -1
	v_cndmask_b32_e64 v20, 0, v7, s0
	v_cmp_gt_u32_e64 s0, s3, v12
	global_inv scope:SCOPE_SE
	v_sub_nc_u32_e32 v20, v8, v20
	s_wait_alu 0xf1ff
	v_cndmask_b32_e64 v21, 0, v6, s0
	v_cmp_gt_u32_e64 s0, s3, v13
	s_delay_alu instid0(VALU_DEP_3) | instskip(NEXT) | instid1(VALU_DEP_3)
	v_add_nc_u32_e32 v8, v20, v8
	v_sub_nc_u32_e32 v21, v7, v21
	s_wait_alu 0xf1ff
	s_delay_alu instid0(VALU_DEP_3) | instskip(SKIP_1) | instid1(VALU_DEP_3)
	v_cndmask_b32_e64 v22, 0, v5, s0
	v_cmp_gt_u32_e64 s0, s3, v15
	v_add_nc_u32_e32 v7, v21, v7
	s_delay_alu instid0(VALU_DEP_3) | instskip(SKIP_1) | instid1(VALU_DEP_3)
	v_sub_nc_u32_e32 v22, v6, v22
	s_wait_alu 0xf1ff
	v_cndmask_b32_e64 v23, 0, v3, s0
	v_cmp_gt_u32_e64 s0, s3, v17
	s_delay_alu instid0(VALU_DEP_3) | instskip(NEXT) | instid1(VALU_DEP_3)
	v_add_nc_u32_e32 v6, v22, v6
	v_sub_nc_u32_e32 v23, v4, v23
	s_wait_alu 0xf1ff
	s_delay_alu instid0(VALU_DEP_3) | instskip(SKIP_1) | instid1(VALU_DEP_2)
	v_cndmask_b32_e64 v24, 0, v1, s0
	v_cmp_gt_u32_e64 s0, s3, v10
	v_sub_nc_u32_e32 v24, v2, v24
	s_wait_alu 0xf1ff
	s_delay_alu instid0(VALU_DEP_2) | instskip(SKIP_1) | instid1(VALU_DEP_2)
	v_cndmask_b32_e64 v19, 0, v19, s0
	v_cmp_gt_u32_e64 s0, s3, v16
	v_sub_nc_u32_e32 v19, v1, v19
	s_wait_alu 0xf1ff
	s_delay_alu instid0(VALU_DEP_2) | instskip(SKIP_3) | instid1(VALU_DEP_4)
	v_cndmask_b32_e64 v25, 0, v2, s0
	v_cmp_gt_u32_e64 s0, s3, v14
	v_add_nc_u32_e32 v2, v24, v2
	v_add_nc_u32_e32 v1, v19, v1
	v_sub_nc_u32_e32 v25, v3, v25
	s_wait_alu 0xf1ff
	v_cndmask_b32_e64 v26, 0, v4, s0
	v_add_nc_u32_e32 v4, v23, v4
	s_add_co_i32 s0, s1, s3
	v_add_nc_u32_e32 v3, v25, v3
	s_delay_alu instid0(VALU_DEP_3) | instskip(SKIP_3) | instid1(VALU_DEP_1)
	v_sub_nc_u32_e32 v26, v5, v26
	s_wait_alu 0xfffe
	s_and_b32 s3, s0, 0x7ff
	s_cmp_lg_u32 s2, 0
	v_add_nc_u32_e32 v5, v26, v5
	s_cbranch_scc0 .LBB153_4
.LBB153_2:                              ; =>This Inner Loop Header: Depth=1
	v_mov_b32_e32 v19, 0x7b
	s_wait_loadcnt 0x0
	ds_store_b32 v9, v8
	s_wait_dscnt 0x0
	s_barrier_signal -1
	s_barrier_wait -1
	global_inv scope:SCOPE_SE
	s_and_saveexec_b32 s0, vcc_lo
	s_cbranch_execz .LBB153_1
; %bb.3:                                ;   in Loop: Header=BB153_2 Depth=1
	ds_load_b32 v19, v18
	s_branch .LBB153_1
.LBB153_4:
	v_lshlrev_b32_e32 v0, 2, v0
	s_add_nc_u64 s[0:1], s[6:7], s[4:5]
	s_clause 0x7
	global_store_b32 v0, v1, s[0:1]
	global_store_b32 v0, v2, s[0:1] offset:1024
	global_store_b32 v0, v3, s[0:1] offset:2048
	;; [unrolled: 1-line block ×7, first 2 shown]
	s_endpgm
	.section	.rodata,"a",@progbits
	.p2align	6, 0x0
	.amdhsa_kernel _Z6kernelI26subtract_left_partial_tileLj256ELj8ELb1EJPiS1_S1_jEEvDpT3_
		.amdhsa_group_segment_fixed_size 2048
		.amdhsa_private_segment_fixed_size 0
		.amdhsa_kernarg_size 28
		.amdhsa_user_sgpr_count 2
		.amdhsa_user_sgpr_dispatch_ptr 0
		.amdhsa_user_sgpr_queue_ptr 0
		.amdhsa_user_sgpr_kernarg_segment_ptr 1
		.amdhsa_user_sgpr_dispatch_id 0
		.amdhsa_user_sgpr_private_segment_size 0
		.amdhsa_wavefront_size32 1
		.amdhsa_uses_dynamic_stack 0
		.amdhsa_enable_private_segment 0
		.amdhsa_system_sgpr_workgroup_id_x 1
		.amdhsa_system_sgpr_workgroup_id_y 0
		.amdhsa_system_sgpr_workgroup_id_z 0
		.amdhsa_system_sgpr_workgroup_info 0
		.amdhsa_system_vgpr_workitem_id 0
		.amdhsa_next_free_vgpr 27
		.amdhsa_next_free_sgpr 14
		.amdhsa_reserve_vcc 1
		.amdhsa_float_round_mode_32 0
		.amdhsa_float_round_mode_16_64 0
		.amdhsa_float_denorm_mode_32 3
		.amdhsa_float_denorm_mode_16_64 3
		.amdhsa_fp16_overflow 0
		.amdhsa_workgroup_processor_mode 1
		.amdhsa_memory_ordered 1
		.amdhsa_forward_progress 1
		.amdhsa_inst_pref_size 7
		.amdhsa_round_robin_scheduling 0
		.amdhsa_exception_fp_ieee_invalid_op 0
		.amdhsa_exception_fp_denorm_src 0
		.amdhsa_exception_fp_ieee_div_zero 0
		.amdhsa_exception_fp_ieee_overflow 0
		.amdhsa_exception_fp_ieee_underflow 0
		.amdhsa_exception_fp_ieee_inexact 0
		.amdhsa_exception_int_div_zero 0
	.end_amdhsa_kernel
	.section	.text._Z6kernelI26subtract_left_partial_tileLj256ELj8ELb1EJPiS1_S1_jEEvDpT3_,"axG",@progbits,_Z6kernelI26subtract_left_partial_tileLj256ELj8ELb1EJPiS1_S1_jEEvDpT3_,comdat
.Lfunc_end153:
	.size	_Z6kernelI26subtract_left_partial_tileLj256ELj8ELb1EJPiS1_S1_jEEvDpT3_, .Lfunc_end153-_Z6kernelI26subtract_left_partial_tileLj256ELj8ELb1EJPiS1_S1_jEEvDpT3_
                                        ; -- End function
	.set _Z6kernelI26subtract_left_partial_tileLj256ELj8ELb1EJPiS1_S1_jEEvDpT3_.num_vgpr, 27
	.set _Z6kernelI26subtract_left_partial_tileLj256ELj8ELb1EJPiS1_S1_jEEvDpT3_.num_agpr, 0
	.set _Z6kernelI26subtract_left_partial_tileLj256ELj8ELb1EJPiS1_S1_jEEvDpT3_.numbered_sgpr, 14
	.set _Z6kernelI26subtract_left_partial_tileLj256ELj8ELb1EJPiS1_S1_jEEvDpT3_.num_named_barrier, 0
	.set _Z6kernelI26subtract_left_partial_tileLj256ELj8ELb1EJPiS1_S1_jEEvDpT3_.private_seg_size, 0
	.set _Z6kernelI26subtract_left_partial_tileLj256ELj8ELb1EJPiS1_S1_jEEvDpT3_.uses_vcc, 1
	.set _Z6kernelI26subtract_left_partial_tileLj256ELj8ELb1EJPiS1_S1_jEEvDpT3_.uses_flat_scratch, 0
	.set _Z6kernelI26subtract_left_partial_tileLj256ELj8ELb1EJPiS1_S1_jEEvDpT3_.has_dyn_sized_stack, 0
	.set _Z6kernelI26subtract_left_partial_tileLj256ELj8ELb1EJPiS1_S1_jEEvDpT3_.has_recursion, 0
	.set _Z6kernelI26subtract_left_partial_tileLj256ELj8ELb1EJPiS1_S1_jEEvDpT3_.has_indirect_call, 0
	.section	.AMDGPU.csdata,"",@progbits
; Kernel info:
; codeLenInByte = 824
; TotalNumSgprs: 16
; NumVgprs: 27
; ScratchSize: 0
; MemoryBound: 0
; FloatMode: 240
; IeeeMode: 1
; LDSByteSize: 2048 bytes/workgroup (compile time only)
; SGPRBlocks: 0
; VGPRBlocks: 3
; NumSGPRsForWavesPerEU: 16
; NumVGPRsForWavesPerEU: 27
; Occupancy: 16
; WaveLimiterHint : 1
; COMPUTE_PGM_RSRC2:SCRATCH_EN: 0
; COMPUTE_PGM_RSRC2:USER_SGPR: 2
; COMPUTE_PGM_RSRC2:TRAP_HANDLER: 0
; COMPUTE_PGM_RSRC2:TGID_X_EN: 1
; COMPUTE_PGM_RSRC2:TGID_Y_EN: 0
; COMPUTE_PGM_RSRC2:TGID_Z_EN: 0
; COMPUTE_PGM_RSRC2:TIDIG_COMP_CNT: 0
	.section	.text._Z6kernelI26subtract_left_partial_tileLj256ELj16ELb1EJPiS1_S1_jEEvDpT3_,"axG",@progbits,_Z6kernelI26subtract_left_partial_tileLj256ELj16ELb1EJPiS1_S1_jEEvDpT3_,comdat
	.protected	_Z6kernelI26subtract_left_partial_tileLj256ELj16ELb1EJPiS1_S1_jEEvDpT3_ ; -- Begin function _Z6kernelI26subtract_left_partial_tileLj256ELj16ELb1EJPiS1_S1_jEEvDpT3_
	.globl	_Z6kernelI26subtract_left_partial_tileLj256ELj16ELb1EJPiS1_S1_jEEvDpT3_
	.p2align	8
	.type	_Z6kernelI26subtract_left_partial_tileLj256ELj16ELb1EJPiS1_S1_jEEvDpT3_,@function
_Z6kernelI26subtract_left_partial_tileLj256ELj16ELb1EJPiS1_S1_jEEvDpT3_: ; @_Z6kernelI26subtract_left_partial_tileLj256ELj16ELb1EJPiS1_S1_jEEvDpT3_
; %bb.0:
	s_load_b128 s[4:7], s[0:1], 0x0
	s_lshl_b32 s10, ttmp9, 12
	s_mov_b32 s11, 0
	v_lshlrev_b32_e32 v17, 2, v0
	s_lshl_b64 s[8:9], s[10:11], 2
	s_load_b96 s[0:2], s[0:1], 0x10
	s_mov_b32 s10, ttmp9
	v_cmp_ne_u32_e32 vcc_lo, 0, v0
	s_lshl_b64 s[10:11], s[10:11], 2
	v_add_nc_u32_e32 v34, -4, v17
	s_wait_kmcnt 0x0
	s_add_nc_u64 s[4:5], s[4:5], s[8:9]
	s_add_nc_u64 s[6:7], s[6:7], s[10:11]
	s_clause 0xf
	global_load_b32 v15, v17, s[4:5]
	global_load_b32 v14, v17, s[4:5] offset:1024
	global_load_b32 v13, v17, s[4:5] offset:2048
	;; [unrolled: 1-line block ×15, first 2 shown]
	s_cvt_f32_u32 s3, s2
	s_sub_co_i32 s4, 0, s2
	s_delay_alu instid0(SALU_CYCLE_2) | instskip(NEXT) | instid1(TRANS32_DEP_1)
	v_rcp_iflag_f32_e32 v18, s3
	v_readfirstlane_b32 s3, v18
	v_lshlrev_b32_e32 v18, 4, v0
	s_mul_f32 s3, s3, 0x4f7ffffe
	s_delay_alu instid0(VALU_DEP_1)
	v_or_b32_e32 v19, 15, v18
	v_or_b32_e32 v20, 14, v18
	;; [unrolled: 1-line block ×3, first 2 shown]
	s_wait_alu 0xfffe
	s_cvt_u32_f32 s3, s3
	v_or_b32_e32 v22, 12, v18
	v_or_b32_e32 v23, 11, v18
	;; [unrolled: 1-line block ×3, first 2 shown]
	s_wait_alu 0xfffe
	s_mul_i32 s4, s4, s3
	v_or_b32_e32 v25, 9, v18
	s_mul_hi_u32 s5, s3, s4
	s_mov_b32 s4, s0
	s_add_co_i32 s3, s3, s5
	v_or_b32_e32 v26, 8, v18
	s_wait_alu 0xfffe
	s_lshr_b32 s0, s3, 20
	s_load_b32 s3, s[6:7], 0x0
	s_mul_i32 s5, s0, s2
	s_add_co_i32 s6, s0, 1
	s_sub_co_i32 s5, 0x1000, s5
	v_or_b32_e32 v27, 7, v18
	s_sub_co_i32 s7, s5, s2
	s_cmp_ge_u32 s5, s2
	v_or_b32_e32 v28, 6, v18
	s_cselect_b32 s0, s6, s0
	s_cselect_b32 s5, s7, s5
	s_add_co_i32 s6, s0, 1
	s_cmp_ge_u32 s5, s2
	v_or_b32_e32 v29, 5, v18
	v_or_b32_e32 v30, 4, v18
	;; [unrolled: 1-line block ×5, first 2 shown]
	s_cselect_b32 s0, s6, s0
	s_mov_b32 s5, s1
	s_add_co_i32 s1, s0, 1
	s_branch .LBB154_2
.LBB154_1:                              ;   in Loop: Header=BB154_2 Depth=1
	s_wait_alu 0xfffe
	s_or_b32 exec_lo, exec_lo, s0
	s_wait_kmcnt 0x0
	v_cmp_gt_u32_e64 s0, s3, v19
	s_add_co_i32 s2, s2, -1
	s_wait_loadcnt_dscnt 0x0
	s_barrier_signal -1
	s_barrier_wait -1
	v_cndmask_b32_e64 v36, 0, v1, s0
	v_cmp_gt_u32_e64 s0, s3, v20
	global_inv scope:SCOPE_SE
	v_sub_nc_u32_e32 v36, v16, v36
	s_wait_alu 0xf1ff
	v_cndmask_b32_e64 v37, 0, v2, s0
	v_cmp_gt_u32_e64 s0, s3, v21
	s_delay_alu instid0(VALU_DEP_3) | instskip(NEXT) | instid1(VALU_DEP_3)
	v_add_nc_u32_e32 v16, v36, v16
	v_sub_nc_u32_e32 v37, v1, v37
	s_wait_alu 0xf1ff
	s_delay_alu instid0(VALU_DEP_3) | instskip(SKIP_1) | instid1(VALU_DEP_3)
	v_cndmask_b32_e64 v38, 0, v3, s0
	v_cmp_gt_u32_e64 s0, s3, v22
	v_add_nc_u32_e32 v1, v37, v1
	s_delay_alu instid0(VALU_DEP_3) | instskip(SKIP_1) | instid1(VALU_DEP_3)
	v_sub_nc_u32_e32 v38, v2, v38
	s_wait_alu 0xf1ff
	v_cndmask_b32_e64 v39, 0, v4, s0
	v_cmp_gt_u32_e64 s0, s3, v23
	s_delay_alu instid0(VALU_DEP_3) | instskip(NEXT) | instid1(VALU_DEP_3)
	v_add_nc_u32_e32 v2, v38, v2
	v_sub_nc_u32_e32 v39, v3, v39
	s_wait_alu 0xf1ff
	s_delay_alu instid0(VALU_DEP_3) | instskip(SKIP_1) | instid1(VALU_DEP_3)
	v_cndmask_b32_e64 v40, 0, v5, s0
	v_cmp_gt_u32_e64 s0, s3, v24
	v_add_nc_u32_e32 v3, v39, v3
	s_delay_alu instid0(VALU_DEP_3) | instskip(SKIP_1) | instid1(VALU_DEP_3)
	v_sub_nc_u32_e32 v40, v4, v40
	s_wait_alu 0xf1ff
	v_cndmask_b32_e64 v41, 0, v6, s0
	v_cmp_gt_u32_e64 s0, s3, v25
	s_delay_alu instid0(VALU_DEP_3) | instskip(NEXT) | instid1(VALU_DEP_3)
	v_add_nc_u32_e32 v4, v40, v4
	v_sub_nc_u32_e32 v41, v5, v41
	s_wait_alu 0xf1ff
	s_delay_alu instid0(VALU_DEP_3) | instskip(SKIP_1) | instid1(VALU_DEP_3)
	v_cndmask_b32_e64 v42, 0, v7, s0
	v_cmp_gt_u32_e64 s0, s3, v26
	v_add_nc_u32_e32 v5, v41, v5
	s_delay_alu instid0(VALU_DEP_3) | instskip(SKIP_1) | instid1(VALU_DEP_3)
	v_sub_nc_u32_e32 v42, v6, v42
	s_wait_alu 0xf1ff
	v_cndmask_b32_e64 v43, 0, v8, s0
	v_cmp_gt_u32_e64 s0, s3, v27
	s_delay_alu instid0(VALU_DEP_3) | instskip(NEXT) | instid1(VALU_DEP_3)
	v_add_nc_u32_e32 v6, v42, v6
	v_sub_nc_u32_e32 v43, v7, v43
	s_wait_alu 0xf1ff
	s_delay_alu instid0(VALU_DEP_3) | instskip(SKIP_1) | instid1(VALU_DEP_3)
	v_cndmask_b32_e64 v44, 0, v9, s0
	v_cmp_gt_u32_e64 s0, s3, v28
	v_add_nc_u32_e32 v7, v43, v7
	s_delay_alu instid0(VALU_DEP_3) | instskip(SKIP_1) | instid1(VALU_DEP_3)
	v_sub_nc_u32_e32 v44, v8, v44
	s_wait_alu 0xf1ff
	v_cndmask_b32_e64 v45, 0, v10, s0
	v_cmp_gt_u32_e64 s0, s3, v29
	s_delay_alu instid0(VALU_DEP_3) | instskip(NEXT) | instid1(VALU_DEP_3)
	v_add_nc_u32_e32 v8, v44, v8
	v_sub_nc_u32_e32 v45, v9, v45
	s_wait_alu 0xf1ff
	s_delay_alu instid0(VALU_DEP_3) | instskip(SKIP_1) | instid1(VALU_DEP_3)
	v_cndmask_b32_e64 v46, 0, v11, s0
	v_cmp_gt_u32_e64 s0, s3, v31
	v_add_nc_u32_e32 v9, v45, v9
	s_delay_alu instid0(VALU_DEP_3) | instskip(SKIP_1) | instid1(VALU_DEP_3)
	v_sub_nc_u32_e32 v46, v10, v46
	s_wait_alu 0xf1ff
	v_cndmask_b32_e64 v47, 0, v13, s0
	v_cmp_gt_u32_e64 s0, s3, v33
	s_delay_alu instid0(VALU_DEP_3) | instskip(NEXT) | instid1(VALU_DEP_3)
	v_add_nc_u32_e32 v10, v46, v10
	v_sub_nc_u32_e32 v47, v12, v47
	s_wait_alu 0xf1ff
	s_delay_alu instid0(VALU_DEP_3) | instskip(SKIP_1) | instid1(VALU_DEP_2)
	v_cndmask_b32_e64 v48, 0, v15, s0
	v_cmp_gt_u32_e64 s0, s3, v18
	v_sub_nc_u32_e32 v48, v14, v48
	s_wait_alu 0xf1ff
	s_delay_alu instid0(VALU_DEP_2) | instskip(SKIP_1) | instid1(VALU_DEP_2)
	v_cndmask_b32_e64 v35, 0, v35, s0
	v_cmp_gt_u32_e64 s0, s3, v32
	v_sub_nc_u32_e32 v35, v15, v35
	s_wait_alu 0xf1ff
	s_delay_alu instid0(VALU_DEP_2) | instskip(SKIP_3) | instid1(VALU_DEP_4)
	v_cndmask_b32_e64 v49, 0, v14, s0
	v_cmp_gt_u32_e64 s0, s3, v30
	v_add_nc_u32_e32 v14, v48, v14
	v_add_nc_u32_e32 v15, v35, v15
	v_sub_nc_u32_e32 v49, v13, v49
	s_wait_alu 0xf1ff
	v_cndmask_b32_e64 v50, 0, v12, s0
	v_add_nc_u32_e32 v12, v47, v12
	s_add_co_i32 s0, s1, s3
	v_add_nc_u32_e32 v13, v49, v13
	s_delay_alu instid0(VALU_DEP_3) | instskip(SKIP_3) | instid1(VALU_DEP_1)
	v_sub_nc_u32_e32 v50, v11, v50
	s_wait_alu 0xfffe
	s_and_b32 s3, s0, 0xfff
	s_cmp_lg_u32 s2, 0
	v_add_nc_u32_e32 v11, v50, v11
	s_cbranch_scc0 .LBB154_4
.LBB154_2:                              ; =>This Inner Loop Header: Depth=1
	v_mov_b32_e32 v35, 0x7b
	s_wait_loadcnt 0x0
	ds_store_b32 v17, v16
	s_wait_dscnt 0x0
	s_barrier_signal -1
	s_barrier_wait -1
	global_inv scope:SCOPE_SE
	s_and_saveexec_b32 s0, vcc_lo
	s_cbranch_execz .LBB154_1
; %bb.3:                                ;   in Loop: Header=BB154_2 Depth=1
	ds_load_b32 v35, v34
	s_branch .LBB154_1
.LBB154_4:
	v_lshlrev_b32_e32 v0, 2, v0
	s_add_nc_u64 s[0:1], s[4:5], s[8:9]
	s_clause 0xf
	global_store_b32 v0, v15, s[0:1]
	global_store_b32 v0, v14, s[0:1] offset:1024
	global_store_b32 v0, v13, s[0:1] offset:2048
	global_store_b32 v0, v12, s[0:1] offset:3072
	global_store_b32 v0, v11, s[0:1] offset:4096
	global_store_b32 v0, v10, s[0:1] offset:5120
	global_store_b32 v0, v9, s[0:1] offset:6144
	global_store_b32 v0, v8, s[0:1] offset:7168
	global_store_b32 v0, v7, s[0:1] offset:8192
	global_store_b32 v0, v6, s[0:1] offset:9216
	global_store_b32 v0, v5, s[0:1] offset:10240
	global_store_b32 v0, v4, s[0:1] offset:11264
	global_store_b32 v0, v3, s[0:1] offset:12288
	global_store_b32 v0, v2, s[0:1] offset:13312
	global_store_b32 v0, v1, s[0:1] offset:14336
	global_store_b32 v0, v16, s[0:1] offset:15360
	s_endpgm
	.section	.rodata,"a",@progbits
	.p2align	6, 0x0
	.amdhsa_kernel _Z6kernelI26subtract_left_partial_tileLj256ELj16ELb1EJPiS1_S1_jEEvDpT3_
		.amdhsa_group_segment_fixed_size 2048
		.amdhsa_private_segment_fixed_size 0
		.amdhsa_kernarg_size 28
		.amdhsa_user_sgpr_count 2
		.amdhsa_user_sgpr_dispatch_ptr 0
		.amdhsa_user_sgpr_queue_ptr 0
		.amdhsa_user_sgpr_kernarg_segment_ptr 1
		.amdhsa_user_sgpr_dispatch_id 0
		.amdhsa_user_sgpr_private_segment_size 0
		.amdhsa_wavefront_size32 1
		.amdhsa_uses_dynamic_stack 0
		.amdhsa_enable_private_segment 0
		.amdhsa_system_sgpr_workgroup_id_x 1
		.amdhsa_system_sgpr_workgroup_id_y 0
		.amdhsa_system_sgpr_workgroup_id_z 0
		.amdhsa_system_sgpr_workgroup_info 0
		.amdhsa_system_vgpr_workitem_id 0
		.amdhsa_next_free_vgpr 51
		.amdhsa_next_free_sgpr 12
		.amdhsa_reserve_vcc 1
		.amdhsa_float_round_mode_32 0
		.amdhsa_float_round_mode_16_64 0
		.amdhsa_float_denorm_mode_32 3
		.amdhsa_float_denorm_mode_16_64 3
		.amdhsa_fp16_overflow 0
		.amdhsa_workgroup_processor_mode 1
		.amdhsa_memory_ordered 1
		.amdhsa_forward_progress 1
		.amdhsa_inst_pref_size 11
		.amdhsa_round_robin_scheduling 0
		.amdhsa_exception_fp_ieee_invalid_op 0
		.amdhsa_exception_fp_denorm_src 0
		.amdhsa_exception_fp_ieee_div_zero 0
		.amdhsa_exception_fp_ieee_overflow 0
		.amdhsa_exception_fp_ieee_underflow 0
		.amdhsa_exception_fp_ieee_inexact 0
		.amdhsa_exception_int_div_zero 0
	.end_amdhsa_kernel
	.section	.text._Z6kernelI26subtract_left_partial_tileLj256ELj16ELb1EJPiS1_S1_jEEvDpT3_,"axG",@progbits,_Z6kernelI26subtract_left_partial_tileLj256ELj16ELb1EJPiS1_S1_jEEvDpT3_,comdat
.Lfunc_end154:
	.size	_Z6kernelI26subtract_left_partial_tileLj256ELj16ELb1EJPiS1_S1_jEEvDpT3_, .Lfunc_end154-_Z6kernelI26subtract_left_partial_tileLj256ELj16ELb1EJPiS1_S1_jEEvDpT3_
                                        ; -- End function
	.set _Z6kernelI26subtract_left_partial_tileLj256ELj16ELb1EJPiS1_S1_jEEvDpT3_.num_vgpr, 51
	.set _Z6kernelI26subtract_left_partial_tileLj256ELj16ELb1EJPiS1_S1_jEEvDpT3_.num_agpr, 0
	.set _Z6kernelI26subtract_left_partial_tileLj256ELj16ELb1EJPiS1_S1_jEEvDpT3_.numbered_sgpr, 12
	.set _Z6kernelI26subtract_left_partial_tileLj256ELj16ELb1EJPiS1_S1_jEEvDpT3_.num_named_barrier, 0
	.set _Z6kernelI26subtract_left_partial_tileLj256ELj16ELb1EJPiS1_S1_jEEvDpT3_.private_seg_size, 0
	.set _Z6kernelI26subtract_left_partial_tileLj256ELj16ELb1EJPiS1_S1_jEEvDpT3_.uses_vcc, 1
	.set _Z6kernelI26subtract_left_partial_tileLj256ELj16ELb1EJPiS1_S1_jEEvDpT3_.uses_flat_scratch, 0
	.set _Z6kernelI26subtract_left_partial_tileLj256ELj16ELb1EJPiS1_S1_jEEvDpT3_.has_dyn_sized_stack, 0
	.set _Z6kernelI26subtract_left_partial_tileLj256ELj16ELb1EJPiS1_S1_jEEvDpT3_.has_recursion, 0
	.set _Z6kernelI26subtract_left_partial_tileLj256ELj16ELb1EJPiS1_S1_jEEvDpT3_.has_indirect_call, 0
	.section	.AMDGPU.csdata,"",@progbits
; Kernel info:
; codeLenInByte = 1312
; TotalNumSgprs: 14
; NumVgprs: 51
; ScratchSize: 0
; MemoryBound: 0
; FloatMode: 240
; IeeeMode: 1
; LDSByteSize: 2048 bytes/workgroup (compile time only)
; SGPRBlocks: 0
; VGPRBlocks: 6
; NumSGPRsForWavesPerEU: 14
; NumVGPRsForWavesPerEU: 51
; Occupancy: 16
; WaveLimiterHint : 1
; COMPUTE_PGM_RSRC2:SCRATCH_EN: 0
; COMPUTE_PGM_RSRC2:USER_SGPR: 2
; COMPUTE_PGM_RSRC2:TRAP_HANDLER: 0
; COMPUTE_PGM_RSRC2:TGID_X_EN: 1
; COMPUTE_PGM_RSRC2:TGID_Y_EN: 0
; COMPUTE_PGM_RSRC2:TGID_Z_EN: 0
; COMPUTE_PGM_RSRC2:TIDIG_COMP_CNT: 0
	.section	.text._Z6kernelI26subtract_left_partial_tileLj256ELj32ELb1EJPiS1_S1_jEEvDpT3_,"axG",@progbits,_Z6kernelI26subtract_left_partial_tileLj256ELj32ELb1EJPiS1_S1_jEEvDpT3_,comdat
	.protected	_Z6kernelI26subtract_left_partial_tileLj256ELj32ELb1EJPiS1_S1_jEEvDpT3_ ; -- Begin function _Z6kernelI26subtract_left_partial_tileLj256ELj32ELb1EJPiS1_S1_jEEvDpT3_
	.globl	_Z6kernelI26subtract_left_partial_tileLj256ELj32ELb1EJPiS1_S1_jEEvDpT3_
	.p2align	8
	.type	_Z6kernelI26subtract_left_partial_tileLj256ELj32ELb1EJPiS1_S1_jEEvDpT3_,@function
_Z6kernelI26subtract_left_partial_tileLj256ELj32ELb1EJPiS1_S1_jEEvDpT3_: ; @_Z6kernelI26subtract_left_partial_tileLj256ELj32ELb1EJPiS1_S1_jEEvDpT3_
; %bb.0:
	s_load_b128 s[4:7], s[0:1], 0x0
	s_lshl_b32 s10, ttmp9, 13
	s_mov_b32 s11, 0
	v_lshlrev_b32_e32 v33, 2, v0
	s_lshl_b64 s[8:9], s[10:11], 2
	s_load_b96 s[0:2], s[0:1], 0x10
	s_mov_b32 s10, ttmp9
	v_cmp_ne_u32_e32 vcc_lo, 0, v0
	s_lshl_b64 s[10:11], s[10:11], 2
	v_add_nc_u32_e32 v66, -4, v33
	s_wait_kmcnt 0x0
	s_add_nc_u64 s[4:5], s[4:5], s[8:9]
	s_add_nc_u64 s[6:7], s[6:7], s[10:11]
	s_clause 0x1f
	global_load_b32 v31, v33, s[4:5]
	global_load_b32 v30, v33, s[4:5] offset:1024
	global_load_b32 v29, v33, s[4:5] offset:2048
	;; [unrolled: 1-line block ×31, first 2 shown]
	s_cvt_f32_u32 s3, s2
	s_sub_co_i32 s4, 0, s2
	s_delay_alu instid0(SALU_CYCLE_2) | instskip(NEXT) | instid1(TRANS32_DEP_1)
	v_rcp_iflag_f32_e32 v34, s3
	v_readfirstlane_b32 s3, v34
	v_lshlrev_b32_e32 v34, 5, v0
	s_mul_f32 s3, s3, 0x4f7ffffe
	s_delay_alu instid0(VALU_DEP_1)
	v_or_b32_e32 v35, 31, v34
	v_or_b32_e32 v36, 30, v34
	;; [unrolled: 1-line block ×3, first 2 shown]
	s_wait_alu 0xfffe
	s_cvt_u32_f32 s3, s3
	v_or_b32_e32 v38, 28, v34
	v_or_b32_e32 v39, 27, v34
	;; [unrolled: 1-line block ×3, first 2 shown]
	s_wait_alu 0xfffe
	s_mul_i32 s4, s4, s3
	v_or_b32_e32 v41, 25, v34
	s_mul_hi_u32 s5, s3, s4
	s_mov_b32 s4, s0
	s_add_co_i32 s3, s3, s5
	v_or_b32_e32 v42, 24, v34
	s_wait_alu 0xfffe
	s_lshr_b32 s0, s3, 19
	s_load_b32 s3, s[6:7], 0x0
	s_mul_i32 s5, s0, s2
	s_add_co_i32 s6, s0, 1
	s_sub_co_i32 s5, 0x2000, s5
	v_or_b32_e32 v43, 23, v34
	s_sub_co_i32 s7, s5, s2
	s_cmp_ge_u32 s5, s2
	v_or_b32_e32 v44, 22, v34
	s_cselect_b32 s0, s6, s0
	s_cselect_b32 s5, s7, s5
	s_add_co_i32 s6, s0, 1
	s_cmp_ge_u32 s5, s2
	v_or_b32_e32 v45, 21, v34
	v_or_b32_e32 v46, 20, v34
	;; [unrolled: 1-line block ×21, first 2 shown]
	s_cselect_b32 s0, s6, s0
	s_mov_b32 s5, s1
	s_add_co_i32 s1, s0, 1
	s_branch .LBB155_2
.LBB155_1:                              ;   in Loop: Header=BB155_2 Depth=1
	s_wait_alu 0xfffe
	s_or_b32 exec_lo, exec_lo, s0
	s_wait_kmcnt 0x0
	v_cmp_gt_u32_e64 s0, s3, v35
	s_add_co_i32 s2, s2, -1
	s_wait_loadcnt_dscnt 0x0
	s_barrier_signal -1
	s_barrier_wait -1
	v_cndmask_b32_e64 v68, 0, v1, s0
	v_cmp_gt_u32_e64 s0, s3, v36
	global_inv scope:SCOPE_SE
	v_sub_nc_u32_e32 v68, v32, v68
	s_wait_alu 0xf1ff
	v_cndmask_b32_e64 v69, 0, v2, s0
	v_cmp_gt_u32_e64 s0, s3, v37
	s_delay_alu instid0(VALU_DEP_3) | instskip(NEXT) | instid1(VALU_DEP_3)
	v_add_nc_u32_e32 v32, v68, v32
	v_sub_nc_u32_e32 v69, v1, v69
	s_wait_alu 0xf1ff
	s_delay_alu instid0(VALU_DEP_3) | instskip(SKIP_1) | instid1(VALU_DEP_3)
	v_cndmask_b32_e64 v70, 0, v3, s0
	v_cmp_gt_u32_e64 s0, s3, v38
	v_add_nc_u32_e32 v1, v69, v1
	s_delay_alu instid0(VALU_DEP_3) | instskip(SKIP_1) | instid1(VALU_DEP_3)
	v_sub_nc_u32_e32 v70, v2, v70
	s_wait_alu 0xf1ff
	v_cndmask_b32_e64 v71, 0, v4, s0
	v_cmp_gt_u32_e64 s0, s3, v39
	s_delay_alu instid0(VALU_DEP_3) | instskip(NEXT) | instid1(VALU_DEP_3)
	v_add_nc_u32_e32 v2, v70, v2
	v_sub_nc_u32_e32 v71, v3, v71
	s_wait_alu 0xf1ff
	s_delay_alu instid0(VALU_DEP_3) | instskip(SKIP_1) | instid1(VALU_DEP_3)
	v_cndmask_b32_e64 v72, 0, v5, s0
	v_cmp_gt_u32_e64 s0, s3, v40
	v_add_nc_u32_e32 v3, v71, v3
	s_delay_alu instid0(VALU_DEP_3) | instskip(SKIP_1) | instid1(VALU_DEP_3)
	;; [unrolled: 13-line block ×11, first 2 shown]
	v_sub_nc_u32_e32 v90, v22, v90
	s_wait_alu 0xf1ff
	v_cndmask_b32_e64 v67, 0, v67, s0
	v_cmp_gt_u32_e64 s0, s3, v59
	s_delay_alu instid0(VALU_DEP_3) | instskip(NEXT) | instid1(VALU_DEP_3)
	v_add_nc_u32_e32 v22, v90, v22
	v_sub_nc_u32_e32 v67, v31, v67
	s_wait_alu 0xf1ff
	s_delay_alu instid0(VALU_DEP_3) | instskip(SKIP_1) | instid1(VALU_DEP_2)
	v_cndmask_b32_e64 v91, 0, v25, s0
	v_cmp_gt_u32_e64 s0, s3, v65
	v_sub_nc_u32_e32 v91, v24, v91
	s_wait_alu 0xf1ff
	s_delay_alu instid0(VALU_DEP_2) | instskip(SKIP_2) | instid1(VALU_DEP_3)
	v_cndmask_b32_e64 v92, 0, v31, s0
	v_cmp_gt_u32_e64 s0, s3, v63
	v_add_nc_u32_e32 v31, v67, v31
	v_sub_nc_u32_e32 v92, v30, v92
	s_wait_alu 0xf1ff
	s_delay_alu instid0(VALU_DEP_3) | instskip(SKIP_1) | instid1(VALU_DEP_2)
	v_cndmask_b32_e64 v93, 0, v29, s0
	v_cmp_gt_u32_e64 s0, s3, v64
	v_sub_nc_u32_e32 v93, v28, v93
	s_wait_alu 0xf1ff
	s_delay_alu instid0(VALU_DEP_2) | instskip(SKIP_2) | instid1(VALU_DEP_3)
	v_cndmask_b32_e64 v94, 0, v30, s0
	v_cmp_gt_u32_e64 s0, s3, v60
	v_add_nc_u32_e32 v30, v92, v30
	v_sub_nc_u32_e32 v94, v29, v94
	s_wait_alu 0xf1ff
	s_delay_alu instid0(VALU_DEP_3) | instskip(SKIP_1) | instid1(VALU_DEP_3)
	v_cndmask_b32_e64 v67, 0, v26, s0
	v_cmp_gt_u32_e64 s0, s3, v62
	v_add_nc_u32_e32 v29, v94, v29
	s_delay_alu instid0(VALU_DEP_3) | instskip(SKIP_1) | instid1(VALU_DEP_3)
	v_sub_nc_u32_e32 v67, v25, v67
	s_wait_alu 0xf1ff
	v_cndmask_b32_e64 v92, 0, v28, s0
	v_cmp_gt_u32_e64 s0, s3, v61
	v_add_nc_u32_e32 v28, v93, v28
	v_add_nc_u32_e32 v25, v67, v25
	s_delay_alu instid0(VALU_DEP_4) | instskip(SKIP_3) | instid1(VALU_DEP_3)
	v_sub_nc_u32_e32 v92, v27, v92
	s_wait_alu 0xf1ff
	v_cndmask_b32_e64 v94, 0, v27, s0
	v_cmp_gt_u32_e64 s0, s3, v58
	v_add_nc_u32_e32 v27, v92, v27
	s_delay_alu instid0(VALU_DEP_3) | instskip(SKIP_1) | instid1(VALU_DEP_3)
	v_sub_nc_u32_e32 v94, v26, v94
	s_wait_alu 0xf1ff
	v_cndmask_b32_e64 v93, 0, v24, s0
	v_add_nc_u32_e32 v24, v91, v24
	s_add_co_i32 s0, s1, s3
	v_add_nc_u32_e32 v26, v94, v26
	s_delay_alu instid0(VALU_DEP_3) | instskip(SKIP_3) | instid1(VALU_DEP_1)
	v_sub_nc_u32_e32 v93, v23, v93
	s_wait_alu 0xfffe
	s_and_b32 s3, s0, 0x1fff
	s_cmp_lg_u32 s2, 0
	v_add_nc_u32_e32 v23, v93, v23
	s_cbranch_scc0 .LBB155_4
.LBB155_2:                              ; =>This Inner Loop Header: Depth=1
	v_mov_b32_e32 v67, 0x7b
	s_wait_loadcnt 0x0
	ds_store_b32 v33, v32
	s_wait_dscnt 0x0
	s_barrier_signal -1
	s_barrier_wait -1
	global_inv scope:SCOPE_SE
	s_and_saveexec_b32 s0, vcc_lo
	s_cbranch_execz .LBB155_1
; %bb.3:                                ;   in Loop: Header=BB155_2 Depth=1
	ds_load_b32 v67, v66
	s_branch .LBB155_1
.LBB155_4:
	v_lshlrev_b32_e32 v0, 2, v0
	s_add_nc_u64 s[0:1], s[4:5], s[8:9]
	s_clause 0x1f
	global_store_b32 v0, v31, s[0:1]
	global_store_b32 v0, v30, s[0:1] offset:1024
	global_store_b32 v0, v29, s[0:1] offset:2048
	;; [unrolled: 1-line block ×31, first 2 shown]
	s_endpgm
	.section	.rodata,"a",@progbits
	.p2align	6, 0x0
	.amdhsa_kernel _Z6kernelI26subtract_left_partial_tileLj256ELj32ELb1EJPiS1_S1_jEEvDpT3_
		.amdhsa_group_segment_fixed_size 2048
		.amdhsa_private_segment_fixed_size 0
		.amdhsa_kernarg_size 28
		.amdhsa_user_sgpr_count 2
		.amdhsa_user_sgpr_dispatch_ptr 0
		.amdhsa_user_sgpr_queue_ptr 0
		.amdhsa_user_sgpr_kernarg_segment_ptr 1
		.amdhsa_user_sgpr_dispatch_id 0
		.amdhsa_user_sgpr_private_segment_size 0
		.amdhsa_wavefront_size32 1
		.amdhsa_uses_dynamic_stack 0
		.amdhsa_enable_private_segment 0
		.amdhsa_system_sgpr_workgroup_id_x 1
		.amdhsa_system_sgpr_workgroup_id_y 0
		.amdhsa_system_sgpr_workgroup_id_z 0
		.amdhsa_system_sgpr_workgroup_info 0
		.amdhsa_system_vgpr_workitem_id 0
		.amdhsa_next_free_vgpr 95
		.amdhsa_next_free_sgpr 12
		.amdhsa_reserve_vcc 1
		.amdhsa_float_round_mode_32 0
		.amdhsa_float_round_mode_16_64 0
		.amdhsa_float_denorm_mode_32 3
		.amdhsa_float_denorm_mode_16_64 3
		.amdhsa_fp16_overflow 0
		.amdhsa_workgroup_processor_mode 1
		.amdhsa_memory_ordered 1
		.amdhsa_forward_progress 1
		.amdhsa_inst_pref_size 18
		.amdhsa_round_robin_scheduling 0
		.amdhsa_exception_fp_ieee_invalid_op 0
		.amdhsa_exception_fp_denorm_src 0
		.amdhsa_exception_fp_ieee_div_zero 0
		.amdhsa_exception_fp_ieee_overflow 0
		.amdhsa_exception_fp_ieee_underflow 0
		.amdhsa_exception_fp_ieee_inexact 0
		.amdhsa_exception_int_div_zero 0
	.end_amdhsa_kernel
	.section	.text._Z6kernelI26subtract_left_partial_tileLj256ELj32ELb1EJPiS1_S1_jEEvDpT3_,"axG",@progbits,_Z6kernelI26subtract_left_partial_tileLj256ELj32ELb1EJPiS1_S1_jEEvDpT3_,comdat
.Lfunc_end155:
	.size	_Z6kernelI26subtract_left_partial_tileLj256ELj32ELb1EJPiS1_S1_jEEvDpT3_, .Lfunc_end155-_Z6kernelI26subtract_left_partial_tileLj256ELj32ELb1EJPiS1_S1_jEEvDpT3_
                                        ; -- End function
	.set _Z6kernelI26subtract_left_partial_tileLj256ELj32ELb1EJPiS1_S1_jEEvDpT3_.num_vgpr, 95
	.set _Z6kernelI26subtract_left_partial_tileLj256ELj32ELb1EJPiS1_S1_jEEvDpT3_.num_agpr, 0
	.set _Z6kernelI26subtract_left_partial_tileLj256ELj32ELb1EJPiS1_S1_jEEvDpT3_.numbered_sgpr, 12
	.set _Z6kernelI26subtract_left_partial_tileLj256ELj32ELb1EJPiS1_S1_jEEvDpT3_.num_named_barrier, 0
	.set _Z6kernelI26subtract_left_partial_tileLj256ELj32ELb1EJPiS1_S1_jEEvDpT3_.private_seg_size, 0
	.set _Z6kernelI26subtract_left_partial_tileLj256ELj32ELb1EJPiS1_S1_jEEvDpT3_.uses_vcc, 1
	.set _Z6kernelI26subtract_left_partial_tileLj256ELj32ELb1EJPiS1_S1_jEEvDpT3_.uses_flat_scratch, 0
	.set _Z6kernelI26subtract_left_partial_tileLj256ELj32ELb1EJPiS1_S1_jEEvDpT3_.has_dyn_sized_stack, 0
	.set _Z6kernelI26subtract_left_partial_tileLj256ELj32ELb1EJPiS1_S1_jEEvDpT3_.has_recursion, 0
	.set _Z6kernelI26subtract_left_partial_tileLj256ELj32ELb1EJPiS1_S1_jEEvDpT3_.has_indirect_call, 0
	.section	.AMDGPU.csdata,"",@progbits
; Kernel info:
; codeLenInByte = 2300
; TotalNumSgprs: 14
; NumVgprs: 95
; ScratchSize: 0
; MemoryBound: 0
; FloatMode: 240
; IeeeMode: 1
; LDSByteSize: 2048 bytes/workgroup (compile time only)
; SGPRBlocks: 0
; VGPRBlocks: 11
; NumSGPRsForWavesPerEU: 14
; NumVGPRsForWavesPerEU: 95
; Occupancy: 16
; WaveLimiterHint : 1
; COMPUTE_PGM_RSRC2:SCRATCH_EN: 0
; COMPUTE_PGM_RSRC2:USER_SGPR: 2
; COMPUTE_PGM_RSRC2:TRAP_HANDLER: 0
; COMPUTE_PGM_RSRC2:TGID_X_EN: 1
; COMPUTE_PGM_RSRC2:TGID_Y_EN: 0
; COMPUTE_PGM_RSRC2:TGID_Z_EN: 0
; COMPUTE_PGM_RSRC2:TIDIG_COMP_CNT: 0
	.section	.text._Z6kernelI26subtract_left_partial_tileLj256ELj1ELb1EJPfPiS1_jEEvDpT3_,"axG",@progbits,_Z6kernelI26subtract_left_partial_tileLj256ELj1ELb1EJPfPiS1_jEEvDpT3_,comdat
	.protected	_Z6kernelI26subtract_left_partial_tileLj256ELj1ELb1EJPfPiS1_jEEvDpT3_ ; -- Begin function _Z6kernelI26subtract_left_partial_tileLj256ELj1ELb1EJPfPiS1_jEEvDpT3_
	.globl	_Z6kernelI26subtract_left_partial_tileLj256ELj1ELb1EJPfPiS1_jEEvDpT3_
	.p2align	8
	.type	_Z6kernelI26subtract_left_partial_tileLj256ELj1ELb1EJPfPiS1_jEEvDpT3_,@function
_Z6kernelI26subtract_left_partial_tileLj256ELj1ELb1EJPfPiS1_jEEvDpT3_: ; @_Z6kernelI26subtract_left_partial_tileLj256ELj1ELb1EJPfPiS1_jEEvDpT3_
; %bb.0:
	s_load_b128 s[8:11], s[0:1], 0x0
	s_lshl_b32 s6, ttmp9, 8
	s_mov_b32 s7, 0
	v_lshlrev_b32_e32 v2, 2, v0
	s_lshl_b64 s[4:5], s[6:7], 2
	s_load_b96 s[0:2], s[0:1], 0x10
	v_cmp_ne_u32_e32 vcc_lo, 0, v0
	s_wait_kmcnt 0x0
	s_add_nc_u64 s[8:9], s[8:9], s[4:5]
	global_load_b32 v1, v2, s[8:9]
	s_cvt_f32_u32 s3, s2
	s_sub_co_i32 s6, 0, s2
	s_delay_alu instid0(SALU_CYCLE_2) | instskip(NEXT) | instid1(TRANS32_DEP_1)
	v_rcp_iflag_f32_e32 v3, s3
	v_readfirstlane_b32 s3, v3
	v_add_nc_u32_e32 v3, -4, v2
	s_mul_f32 s3, s3, 0x4f7ffffe
	s_wait_alu 0xfffe
	s_delay_alu instid0(SALU_CYCLE_2) | instskip(SKIP_1) | instid1(SALU_CYCLE_2)
	s_cvt_u32_f32 s3, s3
	s_wait_alu 0xfffe
	s_mul_i32 s8, s6, s3
	s_mov_b32 s6, ttmp9
	s_mul_hi_u32 s8, s3, s8
	s_lshl_b64 s[6:7], s[6:7], 2
	s_add_co_i32 s8, s3, s8
	s_add_nc_u64 s[6:7], s[10:11], s[6:7]
	s_load_b32 s3, s[6:7], 0x0
	s_lshr_b32 s7, s8, 24
	s_delay_alu instid0(SALU_CYCLE_1)
	s_mul_i32 s6, s7, s2
	s_add_co_i32 s9, s7, 1
	s_sub_co_i32 s8, 0x100, s6
	s_mov_b32 s6, s0
	s_sub_co_i32 s10, s8, s2
	s_cmp_ge_u32 s8, s2
	s_cselect_b32 s0, s9, s7
	s_cselect_b32 s7, s10, s8
	s_add_co_i32 s8, s0, 1
	s_cmp_ge_u32 s7, s2
	s_mov_b32 s7, s1
	s_cselect_b32 s0, s8, s0
	s_delay_alu instid0(SALU_CYCLE_1)
	s_add_co_i32 s1, s0, 1
	s_branch .LBB156_2
.LBB156_1:                              ;   in Loop: Header=BB156_2 Depth=1
	s_wait_alu 0xfffe
	s_or_b32 exec_lo, exec_lo, s0
	s_wait_dscnt 0x0
	v_sub_f32_e32 v4, v1, v4
	s_wait_kmcnt 0x0
	v_cmp_gt_u32_e64 s0, s3, v0
	s_add_co_i32 s2, s2, -1
	s_wait_loadcnt 0x0
	s_barrier_signal -1
	s_barrier_wait -1
	v_cndmask_b32_e64 v4, v1, v4, s0
	s_add_co_i32 s0, s1, s3
	global_inv scope:SCOPE_SE
	s_wait_alu 0xfffe
	s_and_b32 s3, s0, 0xff
	s_cmp_lg_u32 s2, 0
	v_add_f32_e32 v1, v1, v4
	s_cbranch_scc0 .LBB156_4
.LBB156_2:                              ; =>This Inner Loop Header: Depth=1
	v_mov_b32_e32 v4, 0x42f60000
	s_wait_loadcnt 0x0
	ds_store_b32 v2, v1
	s_wait_dscnt 0x0
	s_barrier_signal -1
	s_barrier_wait -1
	global_inv scope:SCOPE_SE
	s_and_saveexec_b32 s0, vcc_lo
	s_cbranch_execz .LBB156_1
; %bb.3:                                ;   in Loop: Header=BB156_2 Depth=1
	ds_load_b32 v4, v3
	s_branch .LBB156_1
.LBB156_4:
	v_lshlrev_b32_e32 v0, 2, v0
	s_add_nc_u64 s[0:1], s[6:7], s[4:5]
	global_store_b32 v0, v1, s[0:1]
	s_endpgm
	.section	.rodata,"a",@progbits
	.p2align	6, 0x0
	.amdhsa_kernel _Z6kernelI26subtract_left_partial_tileLj256ELj1ELb1EJPfPiS1_jEEvDpT3_
		.amdhsa_group_segment_fixed_size 2048
		.amdhsa_private_segment_fixed_size 0
		.amdhsa_kernarg_size 28
		.amdhsa_user_sgpr_count 2
		.amdhsa_user_sgpr_dispatch_ptr 0
		.amdhsa_user_sgpr_queue_ptr 0
		.amdhsa_user_sgpr_kernarg_segment_ptr 1
		.amdhsa_user_sgpr_dispatch_id 0
		.amdhsa_user_sgpr_private_segment_size 0
		.amdhsa_wavefront_size32 1
		.amdhsa_uses_dynamic_stack 0
		.amdhsa_enable_private_segment 0
		.amdhsa_system_sgpr_workgroup_id_x 1
		.amdhsa_system_sgpr_workgroup_id_y 0
		.amdhsa_system_sgpr_workgroup_id_z 0
		.amdhsa_system_sgpr_workgroup_info 0
		.amdhsa_system_vgpr_workitem_id 0
		.amdhsa_next_free_vgpr 5
		.amdhsa_next_free_sgpr 12
		.amdhsa_reserve_vcc 1
		.amdhsa_float_round_mode_32 0
		.amdhsa_float_round_mode_16_64 0
		.amdhsa_float_denorm_mode_32 3
		.amdhsa_float_denorm_mode_16_64 3
		.amdhsa_fp16_overflow 0
		.amdhsa_workgroup_processor_mode 1
		.amdhsa_memory_ordered 1
		.amdhsa_forward_progress 1
		.amdhsa_inst_pref_size 4
		.amdhsa_round_robin_scheduling 0
		.amdhsa_exception_fp_ieee_invalid_op 0
		.amdhsa_exception_fp_denorm_src 0
		.amdhsa_exception_fp_ieee_div_zero 0
		.amdhsa_exception_fp_ieee_overflow 0
		.amdhsa_exception_fp_ieee_underflow 0
		.amdhsa_exception_fp_ieee_inexact 0
		.amdhsa_exception_int_div_zero 0
	.end_amdhsa_kernel
	.section	.text._Z6kernelI26subtract_left_partial_tileLj256ELj1ELb1EJPfPiS1_jEEvDpT3_,"axG",@progbits,_Z6kernelI26subtract_left_partial_tileLj256ELj1ELb1EJPfPiS1_jEEvDpT3_,comdat
.Lfunc_end156:
	.size	_Z6kernelI26subtract_left_partial_tileLj256ELj1ELb1EJPfPiS1_jEEvDpT3_, .Lfunc_end156-_Z6kernelI26subtract_left_partial_tileLj256ELj1ELb1EJPfPiS1_jEEvDpT3_
                                        ; -- End function
	.set _Z6kernelI26subtract_left_partial_tileLj256ELj1ELb1EJPfPiS1_jEEvDpT3_.num_vgpr, 5
	.set _Z6kernelI26subtract_left_partial_tileLj256ELj1ELb1EJPfPiS1_jEEvDpT3_.num_agpr, 0
	.set _Z6kernelI26subtract_left_partial_tileLj256ELj1ELb1EJPfPiS1_jEEvDpT3_.numbered_sgpr, 12
	.set _Z6kernelI26subtract_left_partial_tileLj256ELj1ELb1EJPfPiS1_jEEvDpT3_.num_named_barrier, 0
	.set _Z6kernelI26subtract_left_partial_tileLj256ELj1ELb1EJPfPiS1_jEEvDpT3_.private_seg_size, 0
	.set _Z6kernelI26subtract_left_partial_tileLj256ELj1ELb1EJPfPiS1_jEEvDpT3_.uses_vcc, 1
	.set _Z6kernelI26subtract_left_partial_tileLj256ELj1ELb1EJPfPiS1_jEEvDpT3_.uses_flat_scratch, 0
	.set _Z6kernelI26subtract_left_partial_tileLj256ELj1ELb1EJPfPiS1_jEEvDpT3_.has_dyn_sized_stack, 0
	.set _Z6kernelI26subtract_left_partial_tileLj256ELj1ELb1EJPfPiS1_jEEvDpT3_.has_recursion, 0
	.set _Z6kernelI26subtract_left_partial_tileLj256ELj1ELb1EJPfPiS1_jEEvDpT3_.has_indirect_call, 0
	.section	.AMDGPU.csdata,"",@progbits
; Kernel info:
; codeLenInByte = 388
; TotalNumSgprs: 14
; NumVgprs: 5
; ScratchSize: 0
; MemoryBound: 0
; FloatMode: 240
; IeeeMode: 1
; LDSByteSize: 2048 bytes/workgroup (compile time only)
; SGPRBlocks: 0
; VGPRBlocks: 0
; NumSGPRsForWavesPerEU: 14
; NumVGPRsForWavesPerEU: 5
; Occupancy: 16
; WaveLimiterHint : 0
; COMPUTE_PGM_RSRC2:SCRATCH_EN: 0
; COMPUTE_PGM_RSRC2:USER_SGPR: 2
; COMPUTE_PGM_RSRC2:TRAP_HANDLER: 0
; COMPUTE_PGM_RSRC2:TGID_X_EN: 1
; COMPUTE_PGM_RSRC2:TGID_Y_EN: 0
; COMPUTE_PGM_RSRC2:TGID_Z_EN: 0
; COMPUTE_PGM_RSRC2:TIDIG_COMP_CNT: 0
	.section	.text._Z6kernelI26subtract_left_partial_tileLj256ELj3ELb1EJPfPiS1_jEEvDpT3_,"axG",@progbits,_Z6kernelI26subtract_left_partial_tileLj256ELj3ELb1EJPfPiS1_jEEvDpT3_,comdat
	.protected	_Z6kernelI26subtract_left_partial_tileLj256ELj3ELb1EJPfPiS1_jEEvDpT3_ ; -- Begin function _Z6kernelI26subtract_left_partial_tileLj256ELj3ELb1EJPfPiS1_jEEvDpT3_
	.globl	_Z6kernelI26subtract_left_partial_tileLj256ELj3ELb1EJPfPiS1_jEEvDpT3_
	.p2align	8
	.type	_Z6kernelI26subtract_left_partial_tileLj256ELj3ELb1EJPfPiS1_jEEvDpT3_,@function
_Z6kernelI26subtract_left_partial_tileLj256ELj3ELb1EJPfPiS1_jEEvDpT3_: ; @_Z6kernelI26subtract_left_partial_tileLj256ELj3ELb1EJPfPiS1_jEEvDpT3_
; %bb.0:
	s_load_b128 s[8:11], s[0:1], 0x0
	s_mul_i32 s6, ttmp9, 0x300
	s_mov_b32 s7, 0
	v_lshlrev_b32_e32 v4, 2, v0
	s_lshl_b64 s[4:5], s[6:7], 2
	s_load_b96 s[0:2], s[0:1], 0x10
	v_mad_u32_u24 v6, v0, 3, 2
	v_mad_u32_u24 v7, v0, 3, 1
	v_add_nc_u32_e32 v8, -4, v4
	v_cmp_ne_u32_e32 vcc_lo, 0, v0
	s_wait_kmcnt 0x0
	s_add_nc_u64 s[8:9], s[8:9], s[4:5]
	s_clause 0x2
	global_load_b32 v1, v4, s[8:9]
	global_load_b32 v2, v4, s[8:9] offset:1024
	global_load_b32 v3, v4, s[8:9] offset:2048
	s_cvt_f32_u32 s3, s2
	s_sub_co_i32 s6, 0, s2
	s_delay_alu instid0(SALU_CYCLE_2) | instskip(NEXT) | instid1(TRANS32_DEP_1)
	v_rcp_iflag_f32_e32 v5, s3
	v_readfirstlane_b32 s3, v5
	v_mul_u32_u24_e32 v5, 3, v0
	s_mul_f32 s3, s3, 0x4f7ffffe
	s_wait_alu 0xfffe
	s_delay_alu instid0(SALU_CYCLE_2) | instskip(SKIP_1) | instid1(SALU_CYCLE_2)
	s_cvt_u32_f32 s3, s3
	s_wait_alu 0xfffe
	s_mul_i32 s6, s6, s3
	s_delay_alu instid0(SALU_CYCLE_1)
	s_mul_hi_u32 s8, s3, s6
	s_mov_b32 s6, ttmp9
	s_add_co_i32 s3, s3, s8
	s_lshl_b64 s[6:7], s[6:7], 2
	s_wait_alu 0xfffe
	s_mul_hi_u32 s8, s3, 0x300
	s_add_nc_u64 s[6:7], s[10:11], s[6:7]
	s_add_co_i32 s9, s8, 1
	s_load_b32 s3, s[6:7], 0x0
	s_mul_i32 s6, s8, s2
	s_delay_alu instid0(SALU_CYCLE_1)
	s_sub_co_i32 s7, 0x300, s6
	s_mov_b32 s6, s0
	s_sub_co_i32 s10, s7, s2
	s_cmp_ge_u32 s7, s2
	s_cselect_b32 s0, s9, s8
	s_cselect_b32 s7, s10, s7
	s_add_co_i32 s8, s0, 1
	s_cmp_ge_u32 s7, s2
	s_mov_b32 s7, s1
	s_cselect_b32 s0, s8, s0
	s_delay_alu instid0(SALU_CYCLE_1)
	s_add_co_i32 s1, s0, 1
	s_branch .LBB157_2
.LBB157_1:                              ;   in Loop: Header=BB157_2 Depth=1
	s_wait_alu 0xfffe
	s_or_b32 exec_lo, exec_lo, s0
	v_dual_sub_f32 v10, v2, v1 :: v_dual_sub_f32 v11, v3, v2
	s_wait_kmcnt 0x0
	v_cmp_gt_u32_e64 s0, s3, v7
	s_add_co_i32 s8, s1, s3
	s_add_co_i32 s2, s2, -1
	s_wait_loadcnt_dscnt 0x0
	s_barrier_signal -1
	v_cndmask_b32_e64 v10, v2, v10, s0
	v_sub_f32_e32 v9, v1, v9
	v_cmp_gt_u32_e64 s0, s3, v5
	s_barrier_wait -1
	global_inv scope:SCOPE_SE
	v_add_f32_e32 v2, v2, v10
	s_wait_alu 0xf1ff
	v_cndmask_b32_e64 v9, v1, v9, s0
	v_cmp_gt_u32_e64 s0, s3, v6
	s_delay_alu instid0(VALU_DEP_2) | instskip(SKIP_1) | instid1(VALU_DEP_2)
	v_add_f32_e32 v1, v1, v9
	s_wait_alu 0xf1ff
	v_cndmask_b32_e64 v11, v3, v11, s0
	s_mul_hi_u32 s0, s8, 0xaaaaaaab
	s_wait_alu 0xfffe
	s_lshr_b32 s0, s0, 9
	s_wait_alu 0xfffe
	s_mulk_i32 s0, 0x300
	v_add_f32_e32 v3, v3, v11
	s_wait_alu 0xfffe
	s_sub_co_i32 s3, s8, s0
	s_cmp_lg_u32 s2, 0
	s_cbranch_scc0 .LBB157_4
.LBB157_2:                              ; =>This Inner Loop Header: Depth=1
	v_mov_b32_e32 v9, 0x42f60000
	s_wait_loadcnt 0x0
	ds_store_b32 v4, v3
	s_wait_dscnt 0x0
	s_barrier_signal -1
	s_barrier_wait -1
	global_inv scope:SCOPE_SE
	s_and_saveexec_b32 s0, vcc_lo
	s_cbranch_execz .LBB157_1
; %bb.3:                                ;   in Loop: Header=BB157_2 Depth=1
	ds_load_b32 v9, v8
	s_branch .LBB157_1
.LBB157_4:
	v_lshlrev_b32_e32 v0, 2, v0
	s_add_nc_u64 s[0:1], s[6:7], s[4:5]
	s_clause 0x2
	global_store_b32 v0, v1, s[0:1]
	global_store_b32 v0, v2, s[0:1] offset:1024
	global_store_b32 v0, v3, s[0:1] offset:2048
	s_endpgm
	.section	.rodata,"a",@progbits
	.p2align	6, 0x0
	.amdhsa_kernel _Z6kernelI26subtract_left_partial_tileLj256ELj3ELb1EJPfPiS1_jEEvDpT3_
		.amdhsa_group_segment_fixed_size 2048
		.amdhsa_private_segment_fixed_size 0
		.amdhsa_kernarg_size 28
		.amdhsa_user_sgpr_count 2
		.amdhsa_user_sgpr_dispatch_ptr 0
		.amdhsa_user_sgpr_queue_ptr 0
		.amdhsa_user_sgpr_kernarg_segment_ptr 1
		.amdhsa_user_sgpr_dispatch_id 0
		.amdhsa_user_sgpr_private_segment_size 0
		.amdhsa_wavefront_size32 1
		.amdhsa_uses_dynamic_stack 0
		.amdhsa_enable_private_segment 0
		.amdhsa_system_sgpr_workgroup_id_x 1
		.amdhsa_system_sgpr_workgroup_id_y 0
		.amdhsa_system_sgpr_workgroup_id_z 0
		.amdhsa_system_sgpr_workgroup_info 0
		.amdhsa_system_vgpr_workitem_id 0
		.amdhsa_next_free_vgpr 12
		.amdhsa_next_free_sgpr 12
		.amdhsa_reserve_vcc 1
		.amdhsa_float_round_mode_32 0
		.amdhsa_float_round_mode_16_64 0
		.amdhsa_float_denorm_mode_32 3
		.amdhsa_float_denorm_mode_16_64 3
		.amdhsa_fp16_overflow 0
		.amdhsa_workgroup_processor_mode 1
		.amdhsa_memory_ordered 1
		.amdhsa_forward_progress 1
		.amdhsa_inst_pref_size 5
		.amdhsa_round_robin_scheduling 0
		.amdhsa_exception_fp_ieee_invalid_op 0
		.amdhsa_exception_fp_denorm_src 0
		.amdhsa_exception_fp_ieee_div_zero 0
		.amdhsa_exception_fp_ieee_overflow 0
		.amdhsa_exception_fp_ieee_underflow 0
		.amdhsa_exception_fp_ieee_inexact 0
		.amdhsa_exception_int_div_zero 0
	.end_amdhsa_kernel
	.section	.text._Z6kernelI26subtract_left_partial_tileLj256ELj3ELb1EJPfPiS1_jEEvDpT3_,"axG",@progbits,_Z6kernelI26subtract_left_partial_tileLj256ELj3ELb1EJPfPiS1_jEEvDpT3_,comdat
.Lfunc_end157:
	.size	_Z6kernelI26subtract_left_partial_tileLj256ELj3ELb1EJPfPiS1_jEEvDpT3_, .Lfunc_end157-_Z6kernelI26subtract_left_partial_tileLj256ELj3ELb1EJPfPiS1_jEEvDpT3_
                                        ; -- End function
	.set _Z6kernelI26subtract_left_partial_tileLj256ELj3ELb1EJPfPiS1_jEEvDpT3_.num_vgpr, 12
	.set _Z6kernelI26subtract_left_partial_tileLj256ELj3ELb1EJPfPiS1_jEEvDpT3_.num_agpr, 0
	.set _Z6kernelI26subtract_left_partial_tileLj256ELj3ELb1EJPfPiS1_jEEvDpT3_.numbered_sgpr, 12
	.set _Z6kernelI26subtract_left_partial_tileLj256ELj3ELb1EJPfPiS1_jEEvDpT3_.num_named_barrier, 0
	.set _Z6kernelI26subtract_left_partial_tileLj256ELj3ELb1EJPfPiS1_jEEvDpT3_.private_seg_size, 0
	.set _Z6kernelI26subtract_left_partial_tileLj256ELj3ELb1EJPfPiS1_jEEvDpT3_.uses_vcc, 1
	.set _Z6kernelI26subtract_left_partial_tileLj256ELj3ELb1EJPfPiS1_jEEvDpT3_.uses_flat_scratch, 0
	.set _Z6kernelI26subtract_left_partial_tileLj256ELj3ELb1EJPfPiS1_jEEvDpT3_.has_dyn_sized_stack, 0
	.set _Z6kernelI26subtract_left_partial_tileLj256ELj3ELb1EJPfPiS1_jEEvDpT3_.has_recursion, 0
	.set _Z6kernelI26subtract_left_partial_tileLj256ELj3ELb1EJPfPiS1_jEEvDpT3_.has_indirect_call, 0
	.section	.AMDGPU.csdata,"",@progbits
; Kernel info:
; codeLenInByte = 556
; TotalNumSgprs: 14
; NumVgprs: 12
; ScratchSize: 0
; MemoryBound: 0
; FloatMode: 240
; IeeeMode: 1
; LDSByteSize: 2048 bytes/workgroup (compile time only)
; SGPRBlocks: 0
; VGPRBlocks: 1
; NumSGPRsForWavesPerEU: 14
; NumVGPRsForWavesPerEU: 12
; Occupancy: 16
; WaveLimiterHint : 1
; COMPUTE_PGM_RSRC2:SCRATCH_EN: 0
; COMPUTE_PGM_RSRC2:USER_SGPR: 2
; COMPUTE_PGM_RSRC2:TRAP_HANDLER: 0
; COMPUTE_PGM_RSRC2:TGID_X_EN: 1
; COMPUTE_PGM_RSRC2:TGID_Y_EN: 0
; COMPUTE_PGM_RSRC2:TGID_Z_EN: 0
; COMPUTE_PGM_RSRC2:TIDIG_COMP_CNT: 0
	.section	.text._Z6kernelI26subtract_left_partial_tileLj256ELj4ELb1EJPfPiS1_jEEvDpT3_,"axG",@progbits,_Z6kernelI26subtract_left_partial_tileLj256ELj4ELb1EJPfPiS1_jEEvDpT3_,comdat
	.protected	_Z6kernelI26subtract_left_partial_tileLj256ELj4ELb1EJPfPiS1_jEEvDpT3_ ; -- Begin function _Z6kernelI26subtract_left_partial_tileLj256ELj4ELb1EJPfPiS1_jEEvDpT3_
	.globl	_Z6kernelI26subtract_left_partial_tileLj256ELj4ELb1EJPfPiS1_jEEvDpT3_
	.p2align	8
	.type	_Z6kernelI26subtract_left_partial_tileLj256ELj4ELb1EJPfPiS1_jEEvDpT3_,@function
_Z6kernelI26subtract_left_partial_tileLj256ELj4ELb1EJPfPiS1_jEEvDpT3_: ; @_Z6kernelI26subtract_left_partial_tileLj256ELj4ELb1EJPfPiS1_jEEvDpT3_
; %bb.0:
	s_load_b128 s[8:11], s[0:1], 0x0
	s_lshl_b32 s6, ttmp9, 10
	s_mov_b32 s7, 0
	v_lshlrev_b32_e32 v5, 2, v0
	s_lshl_b64 s[4:5], s[6:7], 2
	s_load_b96 s[0:2], s[0:1], 0x10
	v_cmp_ne_u32_e32 vcc_lo, 0, v0
	s_delay_alu instid0(VALU_DEP_2)
	v_or_b32_e32 v7, 2, v5
	v_or_b32_e32 v8, 1, v5
	v_add_nc_u32_e32 v9, -4, v5
	s_wait_kmcnt 0x0
	s_add_nc_u64 s[8:9], s[8:9], s[4:5]
	s_clause 0x3
	global_load_b32 v1, v5, s[8:9]
	global_load_b32 v2, v5, s[8:9] offset:1024
	global_load_b32 v3, v5, s[8:9] offset:2048
	;; [unrolled: 1-line block ×3, first 2 shown]
	s_cvt_f32_u32 s3, s2
	s_sub_co_i32 s6, 0, s2
	s_delay_alu instid0(SALU_CYCLE_2) | instskip(NEXT) | instid1(TRANS32_DEP_1)
	v_rcp_iflag_f32_e32 v6, s3
	v_readfirstlane_b32 s3, v6
	v_or_b32_e32 v6, 3, v5
	s_mul_f32 s3, s3, 0x4f7ffffe
	s_wait_alu 0xfffe
	s_delay_alu instid0(SALU_CYCLE_2) | instskip(SKIP_1) | instid1(SALU_CYCLE_2)
	s_cvt_u32_f32 s3, s3
	s_wait_alu 0xfffe
	s_mul_i32 s6, s6, s3
	s_delay_alu instid0(SALU_CYCLE_1)
	s_mul_hi_u32 s8, s3, s6
	s_mov_b32 s6, ttmp9
	s_add_co_i32 s3, s3, s8
	s_lshl_b64 s[6:7], s[6:7], 2
	s_wait_alu 0xfffe
	s_lshr_b32 s8, s3, 22
	s_add_nc_u64 s[6:7], s[10:11], s[6:7]
	s_add_co_i32 s9, s8, 1
	s_load_b32 s3, s[6:7], 0x0
	s_mul_i32 s6, s8, s2
	s_delay_alu instid0(SALU_CYCLE_1)
	s_sub_co_i32 s7, 0x400, s6
	s_mov_b32 s6, s0
	s_sub_co_i32 s10, s7, s2
	s_cmp_ge_u32 s7, s2
	s_cselect_b32 s0, s9, s8
	s_cselect_b32 s7, s10, s7
	s_add_co_i32 s8, s0, 1
	s_cmp_ge_u32 s7, s2
	s_mov_b32 s7, s1
	s_cselect_b32 s0, s8, s0
	s_delay_alu instid0(SALU_CYCLE_1)
	s_add_co_i32 s1, s0, 1
	s_branch .LBB158_2
.LBB158_1:                              ;   in Loop: Header=BB158_2 Depth=1
	s_wait_alu 0xfffe
	s_or_b32 exec_lo, exec_lo, s0
	v_dual_sub_f32 v11, v2, v1 :: v_dual_sub_f32 v12, v4, v3
	s_wait_kmcnt 0x0
	v_cmp_gt_u32_e64 s0, s3, v8
	s_wait_dscnt 0x0
	v_sub_f32_e32 v10, v1, v10
	s_add_co_i32 s2, s2, -1
	s_wait_loadcnt 0x0
	s_barrier_signal -1
	v_cndmask_b32_e64 v11, v2, v11, s0
	v_cmp_gt_u32_e64 s0, s3, v5
	v_sub_f32_e32 v13, v3, v2
	s_barrier_wait -1
	global_inv scope:SCOPE_SE
	v_add_f32_e32 v2, v2, v11
	s_wait_alu 0xf1ff
	v_cndmask_b32_e64 v10, v1, v10, s0
	v_cmp_gt_u32_e64 s0, s3, v7
	s_wait_alu 0xf1ff
	s_delay_alu instid0(VALU_DEP_1) | instskip(SKIP_1) | instid1(VALU_DEP_2)
	v_cndmask_b32_e64 v13, v3, v13, s0
	v_cmp_gt_u32_e64 s0, s3, v6
	v_add_f32_e32 v3, v3, v13
	s_wait_alu 0xf1ff
	s_delay_alu instid0(VALU_DEP_2)
	v_cndmask_b32_e64 v12, v4, v12, s0
	v_add_f32_e32 v1, v1, v10
	s_add_co_i32 s0, s1, s3
	s_wait_alu 0xfffe
	s_and_b32 s3, s0, 0x3ff
	v_add_f32_e32 v4, v4, v12
	s_cmp_lg_u32 s2, 0
	s_cbranch_scc0 .LBB158_4
.LBB158_2:                              ; =>This Inner Loop Header: Depth=1
	v_mov_b32_e32 v10, 0x42f60000
	s_wait_loadcnt 0x0
	ds_store_b32 v5, v4
	s_wait_dscnt 0x0
	s_barrier_signal -1
	s_barrier_wait -1
	global_inv scope:SCOPE_SE
	s_and_saveexec_b32 s0, vcc_lo
	s_cbranch_execz .LBB158_1
; %bb.3:                                ;   in Loop: Header=BB158_2 Depth=1
	ds_load_b32 v10, v9
	s_branch .LBB158_1
.LBB158_4:
	v_lshlrev_b32_e32 v0, 2, v0
	s_add_nc_u64 s[0:1], s[6:7], s[4:5]
	s_clause 0x3
	global_store_b32 v0, v1, s[0:1]
	global_store_b32 v0, v2, s[0:1] offset:1024
	global_store_b32 v0, v3, s[0:1] offset:2048
	;; [unrolled: 1-line block ×3, first 2 shown]
	s_endpgm
	.section	.rodata,"a",@progbits
	.p2align	6, 0x0
	.amdhsa_kernel _Z6kernelI26subtract_left_partial_tileLj256ELj4ELb1EJPfPiS1_jEEvDpT3_
		.amdhsa_group_segment_fixed_size 2048
		.amdhsa_private_segment_fixed_size 0
		.amdhsa_kernarg_size 28
		.amdhsa_user_sgpr_count 2
		.amdhsa_user_sgpr_dispatch_ptr 0
		.amdhsa_user_sgpr_queue_ptr 0
		.amdhsa_user_sgpr_kernarg_segment_ptr 1
		.amdhsa_user_sgpr_dispatch_id 0
		.amdhsa_user_sgpr_private_segment_size 0
		.amdhsa_wavefront_size32 1
		.amdhsa_uses_dynamic_stack 0
		.amdhsa_enable_private_segment 0
		.amdhsa_system_sgpr_workgroup_id_x 1
		.amdhsa_system_sgpr_workgroup_id_y 0
		.amdhsa_system_sgpr_workgroup_id_z 0
		.amdhsa_system_sgpr_workgroup_info 0
		.amdhsa_system_vgpr_workitem_id 0
		.amdhsa_next_free_vgpr 14
		.amdhsa_next_free_sgpr 12
		.amdhsa_reserve_vcc 1
		.amdhsa_float_round_mode_32 0
		.amdhsa_float_round_mode_16_64 0
		.amdhsa_float_denorm_mode_32 3
		.amdhsa_float_denorm_mode_16_64 3
		.amdhsa_fp16_overflow 0
		.amdhsa_workgroup_processor_mode 1
		.amdhsa_memory_ordered 1
		.amdhsa_forward_progress 1
		.amdhsa_inst_pref_size 5
		.amdhsa_round_robin_scheduling 0
		.amdhsa_exception_fp_ieee_invalid_op 0
		.amdhsa_exception_fp_denorm_src 0
		.amdhsa_exception_fp_ieee_div_zero 0
		.amdhsa_exception_fp_ieee_overflow 0
		.amdhsa_exception_fp_ieee_underflow 0
		.amdhsa_exception_fp_ieee_inexact 0
		.amdhsa_exception_int_div_zero 0
	.end_amdhsa_kernel
	.section	.text._Z6kernelI26subtract_left_partial_tileLj256ELj4ELb1EJPfPiS1_jEEvDpT3_,"axG",@progbits,_Z6kernelI26subtract_left_partial_tileLj256ELj4ELb1EJPfPiS1_jEEvDpT3_,comdat
.Lfunc_end158:
	.size	_Z6kernelI26subtract_left_partial_tileLj256ELj4ELb1EJPfPiS1_jEEvDpT3_, .Lfunc_end158-_Z6kernelI26subtract_left_partial_tileLj256ELj4ELb1EJPfPiS1_jEEvDpT3_
                                        ; -- End function
	.set _Z6kernelI26subtract_left_partial_tileLj256ELj4ELb1EJPfPiS1_jEEvDpT3_.num_vgpr, 14
	.set _Z6kernelI26subtract_left_partial_tileLj256ELj4ELb1EJPfPiS1_jEEvDpT3_.num_agpr, 0
	.set _Z6kernelI26subtract_left_partial_tileLj256ELj4ELb1EJPfPiS1_jEEvDpT3_.numbered_sgpr, 12
	.set _Z6kernelI26subtract_left_partial_tileLj256ELj4ELb1EJPfPiS1_jEEvDpT3_.num_named_barrier, 0
	.set _Z6kernelI26subtract_left_partial_tileLj256ELj4ELb1EJPfPiS1_jEEvDpT3_.private_seg_size, 0
	.set _Z6kernelI26subtract_left_partial_tileLj256ELj4ELb1EJPfPiS1_jEEvDpT3_.uses_vcc, 1
	.set _Z6kernelI26subtract_left_partial_tileLj256ELj4ELb1EJPfPiS1_jEEvDpT3_.uses_flat_scratch, 0
	.set _Z6kernelI26subtract_left_partial_tileLj256ELj4ELb1EJPfPiS1_jEEvDpT3_.has_dyn_sized_stack, 0
	.set _Z6kernelI26subtract_left_partial_tileLj256ELj4ELb1EJPfPiS1_jEEvDpT3_.has_recursion, 0
	.set _Z6kernelI26subtract_left_partial_tileLj256ELj4ELb1EJPfPiS1_jEEvDpT3_.has_indirect_call, 0
	.section	.AMDGPU.csdata,"",@progbits
; Kernel info:
; codeLenInByte = 584
; TotalNumSgprs: 14
; NumVgprs: 14
; ScratchSize: 0
; MemoryBound: 0
; FloatMode: 240
; IeeeMode: 1
; LDSByteSize: 2048 bytes/workgroup (compile time only)
; SGPRBlocks: 0
; VGPRBlocks: 1
; NumSGPRsForWavesPerEU: 14
; NumVGPRsForWavesPerEU: 14
; Occupancy: 16
; WaveLimiterHint : 1
; COMPUTE_PGM_RSRC2:SCRATCH_EN: 0
; COMPUTE_PGM_RSRC2:USER_SGPR: 2
; COMPUTE_PGM_RSRC2:TRAP_HANDLER: 0
; COMPUTE_PGM_RSRC2:TGID_X_EN: 1
; COMPUTE_PGM_RSRC2:TGID_Y_EN: 0
; COMPUTE_PGM_RSRC2:TGID_Z_EN: 0
; COMPUTE_PGM_RSRC2:TIDIG_COMP_CNT: 0
	.section	.text._Z6kernelI26subtract_left_partial_tileLj256ELj8ELb1EJPfPiS1_jEEvDpT3_,"axG",@progbits,_Z6kernelI26subtract_left_partial_tileLj256ELj8ELb1EJPfPiS1_jEEvDpT3_,comdat
	.protected	_Z6kernelI26subtract_left_partial_tileLj256ELj8ELb1EJPfPiS1_jEEvDpT3_ ; -- Begin function _Z6kernelI26subtract_left_partial_tileLj256ELj8ELb1EJPfPiS1_jEEvDpT3_
	.globl	_Z6kernelI26subtract_left_partial_tileLj256ELj8ELb1EJPfPiS1_jEEvDpT3_
	.p2align	8
	.type	_Z6kernelI26subtract_left_partial_tileLj256ELj8ELb1EJPfPiS1_jEEvDpT3_,@function
_Z6kernelI26subtract_left_partial_tileLj256ELj8ELb1EJPfPiS1_jEEvDpT3_: ; @_Z6kernelI26subtract_left_partial_tileLj256ELj8ELb1EJPfPiS1_jEEvDpT3_
; %bb.0:
	s_load_b128 s[8:11], s[0:1], 0x0
	s_lshl_b32 s12, ttmp9, 11
	s_mov_b32 s13, 0
	v_lshlrev_b32_e32 v9, 2, v0
	s_lshl_b64 s[4:5], s[12:13], 2
	s_load_b96 s[0:2], s[0:1], 0x10
	s_mov_b32 s12, ttmp9
	v_cmp_ne_u32_e32 vcc_lo, 0, v0
	v_add_nc_u32_e32 v18, -4, v9
	s_wait_kmcnt 0x0
	s_add_nc_u64 s[6:7], s[8:9], s[4:5]
	s_lshl_b64 s[8:9], s[12:13], 2
	s_clause 0x7
	global_load_b32 v1, v9, s[6:7]
	global_load_b32 v2, v9, s[6:7] offset:1024
	global_load_b32 v3, v9, s[6:7] offset:2048
	;; [unrolled: 1-line block ×7, first 2 shown]
	s_add_nc_u64 s[8:9], s[10:11], s[8:9]
	s_cvt_f32_u32 s3, s2
	s_sub_co_i32 s6, 0, s2
	s_delay_alu instid0(SALU_CYCLE_2) | instskip(NEXT) | instid1(TRANS32_DEP_1)
	v_rcp_iflag_f32_e32 v10, s3
	v_readfirstlane_b32 s3, v10
	v_lshlrev_b32_e32 v10, 3, v0
	s_mul_f32 s3, s3, 0x4f7ffffe
	s_delay_alu instid0(VALU_DEP_1)
	v_or_b32_e32 v11, 7, v10
	v_or_b32_e32 v12, 6, v10
	;; [unrolled: 1-line block ×3, first 2 shown]
	s_wait_alu 0xfffe
	s_cvt_u32_f32 s3, s3
	v_or_b32_e32 v14, 4, v10
	v_or_b32_e32 v15, 3, v10
	;; [unrolled: 1-line block ×3, first 2 shown]
	s_wait_alu 0xfffe
	s_mul_i32 s6, s6, s3
	v_or_b32_e32 v17, 1, v10
	s_mul_hi_u32 s7, s3, s6
	s_mov_b32 s6, s0
	s_add_co_i32 s3, s3, s7
	s_wait_alu 0xfffe
	s_lshr_b32 s0, s3, 21
	s_load_b32 s3, s[8:9], 0x0
	s_mul_i32 s7, s0, s2
	s_add_co_i32 s8, s0, 1
	s_sub_co_i32 s7, 0x800, s7
	s_delay_alu instid0(SALU_CYCLE_1)
	s_sub_co_i32 s9, s7, s2
	s_cmp_ge_u32 s7, s2
	s_cselect_b32 s0, s8, s0
	s_cselect_b32 s7, s9, s7
	s_add_co_i32 s8, s0, 1
	s_cmp_ge_u32 s7, s2
	s_mov_b32 s7, s1
	s_cselect_b32 s0, s8, s0
	s_delay_alu instid0(SALU_CYCLE_1)
	s_add_co_i32 s1, s0, 1
	s_branch .LBB159_2
.LBB159_1:                              ;   in Loop: Header=BB159_2 Depth=1
	s_wait_alu 0xfffe
	s_or_b32 exec_lo, exec_lo, s0
	v_dual_sub_f32 v20, v8, v7 :: v_dual_sub_f32 v21, v7, v6
	s_wait_kmcnt 0x0
	v_cmp_gt_u32_e64 s0, s3, v11
	v_dual_sub_f32 v22, v6, v5 :: v_dual_sub_f32 v23, v4, v3
	v_dual_sub_f32 v24, v5, v4 :: v_dual_sub_f32 v25, v2, v1
	s_wait_alu 0xf1ff
	s_delay_alu instid0(VALU_DEP_3)
	v_cndmask_b32_e64 v20, v8, v20, s0
	v_cmp_gt_u32_e64 s0, s3, v12
	s_wait_dscnt 0x0
	v_dual_sub_f32 v19, v1, v19 :: v_dual_sub_f32 v26, v3, v2
	s_add_co_i32 s2, s2, -1
	s_wait_loadcnt 0x0
	v_cndmask_b32_e64 v21, v7, v21, s0
	v_cmp_gt_u32_e64 s0, s3, v13
	v_add_f32_e32 v8, v8, v20
	s_barrier_signal -1
	s_barrier_wait -1
	v_add_f32_e32 v7, v7, v21
	s_wait_alu 0xf1ff
	v_cndmask_b32_e64 v22, v6, v22, s0
	v_cmp_gt_u32_e64 s0, s3, v15
	global_inv scope:SCOPE_SE
	v_add_f32_e32 v6, v6, v22
	s_wait_alu 0xf1ff
	v_cndmask_b32_e64 v23, v4, v23, s0
	v_cmp_gt_u32_e64 s0, s3, v17
	s_delay_alu instid0(VALU_DEP_2) | instskip(SKIP_1) | instid1(VALU_DEP_2)
	v_add_f32_e32 v4, v4, v23
	s_wait_alu 0xf1ff
	v_cndmask_b32_e64 v25, v2, v25, s0
	v_cmp_gt_u32_e64 s0, s3, v10
	s_delay_alu instid0(VALU_DEP_2) | instskip(SKIP_1) | instid1(VALU_DEP_2)
	;; [unrolled: 5-line block ×4, first 2 shown]
	v_add_f32_e32 v3, v3, v26
	s_wait_alu 0xf1ff
	v_cndmask_b32_e64 v24, v5, v24, s0
	s_add_co_i32 s0, s1, s3
	s_wait_alu 0xfffe
	s_and_b32 s3, s0, 0x7ff
	s_cmp_lg_u32 s2, 0
	v_add_f32_e32 v5, v5, v24
	s_cbranch_scc0 .LBB159_4
.LBB159_2:                              ; =>This Inner Loop Header: Depth=1
	v_mov_b32_e32 v19, 0x42f60000
	s_wait_loadcnt 0x0
	ds_store_b32 v9, v8
	s_wait_dscnt 0x0
	s_barrier_signal -1
	s_barrier_wait -1
	global_inv scope:SCOPE_SE
	s_and_saveexec_b32 s0, vcc_lo
	s_cbranch_execz .LBB159_1
; %bb.3:                                ;   in Loop: Header=BB159_2 Depth=1
	ds_load_b32 v19, v18
	s_branch .LBB159_1
.LBB159_4:
	v_lshlrev_b32_e32 v0, 2, v0
	s_add_nc_u64 s[0:1], s[6:7], s[4:5]
	s_clause 0x7
	global_store_b32 v0, v1, s[0:1]
	global_store_b32 v0, v2, s[0:1] offset:1024
	global_store_b32 v0, v3, s[0:1] offset:2048
	;; [unrolled: 1-line block ×7, first 2 shown]
	s_endpgm
	.section	.rodata,"a",@progbits
	.p2align	6, 0x0
	.amdhsa_kernel _Z6kernelI26subtract_left_partial_tileLj256ELj8ELb1EJPfPiS1_jEEvDpT3_
		.amdhsa_group_segment_fixed_size 2048
		.amdhsa_private_segment_fixed_size 0
		.amdhsa_kernarg_size 28
		.amdhsa_user_sgpr_count 2
		.amdhsa_user_sgpr_dispatch_ptr 0
		.amdhsa_user_sgpr_queue_ptr 0
		.amdhsa_user_sgpr_kernarg_segment_ptr 1
		.amdhsa_user_sgpr_dispatch_id 0
		.amdhsa_user_sgpr_private_segment_size 0
		.amdhsa_wavefront_size32 1
		.amdhsa_uses_dynamic_stack 0
		.amdhsa_enable_private_segment 0
		.amdhsa_system_sgpr_workgroup_id_x 1
		.amdhsa_system_sgpr_workgroup_id_y 0
		.amdhsa_system_sgpr_workgroup_id_z 0
		.amdhsa_system_sgpr_workgroup_info 0
		.amdhsa_system_vgpr_workitem_id 0
		.amdhsa_next_free_vgpr 27
		.amdhsa_next_free_sgpr 14
		.amdhsa_reserve_vcc 1
		.amdhsa_float_round_mode_32 0
		.amdhsa_float_round_mode_16_64 0
		.amdhsa_float_denorm_mode_32 3
		.amdhsa_float_denorm_mode_16_64 3
		.amdhsa_fp16_overflow 0
		.amdhsa_workgroup_processor_mode 1
		.amdhsa_memory_ordered 1
		.amdhsa_forward_progress 1
		.amdhsa_inst_pref_size 7
		.amdhsa_round_robin_scheduling 0
		.amdhsa_exception_fp_ieee_invalid_op 0
		.amdhsa_exception_fp_denorm_src 0
		.amdhsa_exception_fp_ieee_div_zero 0
		.amdhsa_exception_fp_ieee_overflow 0
		.amdhsa_exception_fp_ieee_underflow 0
		.amdhsa_exception_fp_ieee_inexact 0
		.amdhsa_exception_int_div_zero 0
	.end_amdhsa_kernel
	.section	.text._Z6kernelI26subtract_left_partial_tileLj256ELj8ELb1EJPfPiS1_jEEvDpT3_,"axG",@progbits,_Z6kernelI26subtract_left_partial_tileLj256ELj8ELb1EJPfPiS1_jEEvDpT3_,comdat
.Lfunc_end159:
	.size	_Z6kernelI26subtract_left_partial_tileLj256ELj8ELb1EJPfPiS1_jEEvDpT3_, .Lfunc_end159-_Z6kernelI26subtract_left_partial_tileLj256ELj8ELb1EJPfPiS1_jEEvDpT3_
                                        ; -- End function
	.set _Z6kernelI26subtract_left_partial_tileLj256ELj8ELb1EJPfPiS1_jEEvDpT3_.num_vgpr, 27
	.set _Z6kernelI26subtract_left_partial_tileLj256ELj8ELb1EJPfPiS1_jEEvDpT3_.num_agpr, 0
	.set _Z6kernelI26subtract_left_partial_tileLj256ELj8ELb1EJPfPiS1_jEEvDpT3_.numbered_sgpr, 14
	.set _Z6kernelI26subtract_left_partial_tileLj256ELj8ELb1EJPfPiS1_jEEvDpT3_.num_named_barrier, 0
	.set _Z6kernelI26subtract_left_partial_tileLj256ELj8ELb1EJPfPiS1_jEEvDpT3_.private_seg_size, 0
	.set _Z6kernelI26subtract_left_partial_tileLj256ELj8ELb1EJPfPiS1_jEEvDpT3_.uses_vcc, 1
	.set _Z6kernelI26subtract_left_partial_tileLj256ELj8ELb1EJPfPiS1_jEEvDpT3_.uses_flat_scratch, 0
	.set _Z6kernelI26subtract_left_partial_tileLj256ELj8ELb1EJPfPiS1_jEEvDpT3_.has_dyn_sized_stack, 0
	.set _Z6kernelI26subtract_left_partial_tileLj256ELj8ELb1EJPfPiS1_jEEvDpT3_.has_recursion, 0
	.set _Z6kernelI26subtract_left_partial_tileLj256ELj8ELb1EJPfPiS1_jEEvDpT3_.has_indirect_call, 0
	.section	.AMDGPU.csdata,"",@progbits
; Kernel info:
; codeLenInByte = 816
; TotalNumSgprs: 16
; NumVgprs: 27
; ScratchSize: 0
; MemoryBound: 0
; FloatMode: 240
; IeeeMode: 1
; LDSByteSize: 2048 bytes/workgroup (compile time only)
; SGPRBlocks: 0
; VGPRBlocks: 3
; NumSGPRsForWavesPerEU: 16
; NumVGPRsForWavesPerEU: 27
; Occupancy: 16
; WaveLimiterHint : 1
; COMPUTE_PGM_RSRC2:SCRATCH_EN: 0
; COMPUTE_PGM_RSRC2:USER_SGPR: 2
; COMPUTE_PGM_RSRC2:TRAP_HANDLER: 0
; COMPUTE_PGM_RSRC2:TGID_X_EN: 1
; COMPUTE_PGM_RSRC2:TGID_Y_EN: 0
; COMPUTE_PGM_RSRC2:TGID_Z_EN: 0
; COMPUTE_PGM_RSRC2:TIDIG_COMP_CNT: 0
	.section	.text._Z6kernelI26subtract_left_partial_tileLj256ELj16ELb1EJPfPiS1_jEEvDpT3_,"axG",@progbits,_Z6kernelI26subtract_left_partial_tileLj256ELj16ELb1EJPfPiS1_jEEvDpT3_,comdat
	.protected	_Z6kernelI26subtract_left_partial_tileLj256ELj16ELb1EJPfPiS1_jEEvDpT3_ ; -- Begin function _Z6kernelI26subtract_left_partial_tileLj256ELj16ELb1EJPfPiS1_jEEvDpT3_
	.globl	_Z6kernelI26subtract_left_partial_tileLj256ELj16ELb1EJPfPiS1_jEEvDpT3_
	.p2align	8
	.type	_Z6kernelI26subtract_left_partial_tileLj256ELj16ELb1EJPfPiS1_jEEvDpT3_,@function
_Z6kernelI26subtract_left_partial_tileLj256ELj16ELb1EJPfPiS1_jEEvDpT3_: ; @_Z6kernelI26subtract_left_partial_tileLj256ELj16ELb1EJPfPiS1_jEEvDpT3_
; %bb.0:
	s_load_b128 s[4:7], s[0:1], 0x0
	s_lshl_b32 s10, ttmp9, 12
	s_mov_b32 s11, 0
	v_lshlrev_b32_e32 v17, 2, v0
	s_lshl_b64 s[8:9], s[10:11], 2
	s_load_b96 s[0:2], s[0:1], 0x10
	s_mov_b32 s10, ttmp9
	v_cmp_ne_u32_e32 vcc_lo, 0, v0
	s_lshl_b64 s[10:11], s[10:11], 2
	v_add_nc_u32_e32 v34, -4, v17
	s_wait_kmcnt 0x0
	s_add_nc_u64 s[4:5], s[4:5], s[8:9]
	s_add_nc_u64 s[6:7], s[6:7], s[10:11]
	s_clause 0xf
	global_load_b32 v15, v17, s[4:5]
	global_load_b32 v14, v17, s[4:5] offset:1024
	global_load_b32 v13, v17, s[4:5] offset:2048
	;; [unrolled: 1-line block ×15, first 2 shown]
	s_cvt_f32_u32 s3, s2
	s_sub_co_i32 s4, 0, s2
	s_delay_alu instid0(SALU_CYCLE_2) | instskip(NEXT) | instid1(TRANS32_DEP_1)
	v_rcp_iflag_f32_e32 v18, s3
	v_readfirstlane_b32 s3, v18
	v_lshlrev_b32_e32 v18, 4, v0
	s_mul_f32 s3, s3, 0x4f7ffffe
	s_delay_alu instid0(VALU_DEP_1)
	v_or_b32_e32 v19, 15, v18
	v_or_b32_e32 v20, 14, v18
	;; [unrolled: 1-line block ×3, first 2 shown]
	s_wait_alu 0xfffe
	s_cvt_u32_f32 s3, s3
	v_or_b32_e32 v22, 12, v18
	v_or_b32_e32 v23, 11, v18
	;; [unrolled: 1-line block ×3, first 2 shown]
	s_wait_alu 0xfffe
	s_mul_i32 s4, s4, s3
	v_or_b32_e32 v25, 9, v18
	s_mul_hi_u32 s5, s3, s4
	s_mov_b32 s4, s0
	s_add_co_i32 s3, s3, s5
	v_or_b32_e32 v26, 8, v18
	s_wait_alu 0xfffe
	s_lshr_b32 s0, s3, 20
	s_load_b32 s3, s[6:7], 0x0
	s_mul_i32 s5, s0, s2
	s_add_co_i32 s6, s0, 1
	s_sub_co_i32 s5, 0x1000, s5
	v_or_b32_e32 v27, 7, v18
	s_sub_co_i32 s7, s5, s2
	s_cmp_ge_u32 s5, s2
	v_or_b32_e32 v28, 6, v18
	s_cselect_b32 s0, s6, s0
	s_cselect_b32 s5, s7, s5
	s_add_co_i32 s6, s0, 1
	s_cmp_ge_u32 s5, s2
	v_or_b32_e32 v29, 5, v18
	v_or_b32_e32 v30, 4, v18
	;; [unrolled: 1-line block ×5, first 2 shown]
	s_cselect_b32 s0, s6, s0
	s_mov_b32 s5, s1
	s_add_co_i32 s1, s0, 1
	s_branch .LBB160_2
.LBB160_1:                              ;   in Loop: Header=BB160_2 Depth=1
	s_wait_alu 0xfffe
	s_or_b32 exec_lo, exec_lo, s0
	v_dual_sub_f32 v36, v16, v1 :: v_dual_sub_f32 v37, v1, v2
	s_wait_kmcnt 0x0
	v_cmp_gt_u32_e64 s0, s3, v19
	v_dual_sub_f32 v38, v2, v3 :: v_dual_sub_f32 v39, v3, v4
	v_dual_sub_f32 v40, v4, v5 :: v_dual_sub_f32 v41, v5, v6
	s_wait_alu 0xf1ff
	s_delay_alu instid0(VALU_DEP_3) | instskip(SKIP_4) | instid1(VALU_DEP_3)
	v_cndmask_b32_e64 v36, v16, v36, s0
	v_cmp_gt_u32_e64 s0, s3, v20
	v_dual_sub_f32 v42, v6, v7 :: v_dual_sub_f32 v43, v7, v8
	v_dual_sub_f32 v44, v8, v9 :: v_dual_sub_f32 v45, v9, v10
	s_wait_alu 0xf1ff
	v_cndmask_b32_e64 v37, v1, v37, s0
	v_cmp_gt_u32_e64 s0, s3, v21
	v_dual_sub_f32 v46, v10, v11 :: v_dual_sub_f32 v47, v12, v13
	v_dual_sub_f32 v48, v11, v12 :: v_dual_sub_f32 v49, v14, v15
	s_wait_alu 0xf1ff
	s_delay_alu instid0(VALU_DEP_3)
	v_cndmask_b32_e64 v38, v2, v38, s0
	v_cmp_gt_u32_e64 s0, s3, v22
	s_wait_dscnt 0x0
	v_dual_sub_f32 v35, v15, v35 :: v_dual_sub_f32 v50, v13, v14
	v_dual_add_f32 v1, v1, v37 :: v_dual_add_f32 v16, v16, v36
	s_wait_alu 0xf1ff
	v_cndmask_b32_e64 v39, v3, v39, s0
	v_cmp_gt_u32_e64 s0, s3, v23
	v_add_f32_e32 v2, v2, v38
	s_add_co_i32 s2, s2, -1
	s_wait_loadcnt 0x0
	v_add_f32_e32 v3, v3, v39
	v_cndmask_b32_e64 v40, v4, v40, s0
	v_cmp_gt_u32_e64 s0, s3, v24
	s_barrier_signal -1
	s_barrier_wait -1
	global_inv scope:SCOPE_SE
	v_add_f32_e32 v4, v4, v40
	s_wait_alu 0xf1ff
	v_cndmask_b32_e64 v41, v5, v41, s0
	v_cmp_gt_u32_e64 s0, s3, v25
	s_delay_alu instid0(VALU_DEP_2) | instskip(SKIP_1) | instid1(VALU_DEP_2)
	v_add_f32_e32 v5, v5, v41
	s_wait_alu 0xf1ff
	v_cndmask_b32_e64 v42, v6, v42, s0
	v_cmp_gt_u32_e64 s0, s3, v26
	s_delay_alu instid0(VALU_DEP_2) | instskip(SKIP_1) | instid1(VALU_DEP_2)
	;; [unrolled: 5-line block ×10, first 2 shown]
	v_add_f32_e32 v13, v13, v50
	s_wait_alu 0xf1ff
	v_cndmask_b32_e64 v48, v11, v48, s0
	s_add_co_i32 s0, s1, s3
	s_wait_alu 0xfffe
	s_and_b32 s3, s0, 0xfff
	s_cmp_lg_u32 s2, 0
	v_add_f32_e32 v11, v11, v48
	s_cbranch_scc0 .LBB160_4
.LBB160_2:                              ; =>This Inner Loop Header: Depth=1
	v_mov_b32_e32 v35, 0x42f60000
	s_wait_loadcnt 0x0
	ds_store_b32 v17, v16
	s_wait_dscnt 0x0
	s_barrier_signal -1
	s_barrier_wait -1
	global_inv scope:SCOPE_SE
	s_and_saveexec_b32 s0, vcc_lo
	s_cbranch_execz .LBB160_1
; %bb.3:                                ;   in Loop: Header=BB160_2 Depth=1
	ds_load_b32 v35, v34
	s_branch .LBB160_1
.LBB160_4:
	v_lshlrev_b32_e32 v0, 2, v0
	s_add_nc_u64 s[0:1], s[4:5], s[8:9]
	s_clause 0xf
	global_store_b32 v0, v15, s[0:1]
	global_store_b32 v0, v14, s[0:1] offset:1024
	global_store_b32 v0, v13, s[0:1] offset:2048
	;; [unrolled: 1-line block ×15, first 2 shown]
	s_endpgm
	.section	.rodata,"a",@progbits
	.p2align	6, 0x0
	.amdhsa_kernel _Z6kernelI26subtract_left_partial_tileLj256ELj16ELb1EJPfPiS1_jEEvDpT3_
		.amdhsa_group_segment_fixed_size 2048
		.amdhsa_private_segment_fixed_size 0
		.amdhsa_kernarg_size 28
		.amdhsa_user_sgpr_count 2
		.amdhsa_user_sgpr_dispatch_ptr 0
		.amdhsa_user_sgpr_queue_ptr 0
		.amdhsa_user_sgpr_kernarg_segment_ptr 1
		.amdhsa_user_sgpr_dispatch_id 0
		.amdhsa_user_sgpr_private_segment_size 0
		.amdhsa_wavefront_size32 1
		.amdhsa_uses_dynamic_stack 0
		.amdhsa_enable_private_segment 0
		.amdhsa_system_sgpr_workgroup_id_x 1
		.amdhsa_system_sgpr_workgroup_id_y 0
		.amdhsa_system_sgpr_workgroup_id_z 0
		.amdhsa_system_sgpr_workgroup_info 0
		.amdhsa_system_vgpr_workitem_id 0
		.amdhsa_next_free_vgpr 51
		.amdhsa_next_free_sgpr 12
		.amdhsa_reserve_vcc 1
		.amdhsa_float_round_mode_32 0
		.amdhsa_float_round_mode_16_64 0
		.amdhsa_float_denorm_mode_32 3
		.amdhsa_float_denorm_mode_16_64 3
		.amdhsa_fp16_overflow 0
		.amdhsa_workgroup_processor_mode 1
		.amdhsa_memory_ordered 1
		.amdhsa_forward_progress 1
		.amdhsa_inst_pref_size 11
		.amdhsa_round_robin_scheduling 0
		.amdhsa_exception_fp_ieee_invalid_op 0
		.amdhsa_exception_fp_denorm_src 0
		.amdhsa_exception_fp_ieee_div_zero 0
		.amdhsa_exception_fp_ieee_overflow 0
		.amdhsa_exception_fp_ieee_underflow 0
		.amdhsa_exception_fp_ieee_inexact 0
		.amdhsa_exception_int_div_zero 0
	.end_amdhsa_kernel
	.section	.text._Z6kernelI26subtract_left_partial_tileLj256ELj16ELb1EJPfPiS1_jEEvDpT3_,"axG",@progbits,_Z6kernelI26subtract_left_partial_tileLj256ELj16ELb1EJPfPiS1_jEEvDpT3_,comdat
.Lfunc_end160:
	.size	_Z6kernelI26subtract_left_partial_tileLj256ELj16ELb1EJPfPiS1_jEEvDpT3_, .Lfunc_end160-_Z6kernelI26subtract_left_partial_tileLj256ELj16ELb1EJPfPiS1_jEEvDpT3_
                                        ; -- End function
	.set _Z6kernelI26subtract_left_partial_tileLj256ELj16ELb1EJPfPiS1_jEEvDpT3_.num_vgpr, 51
	.set _Z6kernelI26subtract_left_partial_tileLj256ELj16ELb1EJPfPiS1_jEEvDpT3_.num_agpr, 0
	.set _Z6kernelI26subtract_left_partial_tileLj256ELj16ELb1EJPfPiS1_jEEvDpT3_.numbered_sgpr, 12
	.set _Z6kernelI26subtract_left_partial_tileLj256ELj16ELb1EJPfPiS1_jEEvDpT3_.num_named_barrier, 0
	.set _Z6kernelI26subtract_left_partial_tileLj256ELj16ELb1EJPfPiS1_jEEvDpT3_.private_seg_size, 0
	.set _Z6kernelI26subtract_left_partial_tileLj256ELj16ELb1EJPfPiS1_jEEvDpT3_.uses_vcc, 1
	.set _Z6kernelI26subtract_left_partial_tileLj256ELj16ELb1EJPfPiS1_jEEvDpT3_.uses_flat_scratch, 0
	.set _Z6kernelI26subtract_left_partial_tileLj256ELj16ELb1EJPfPiS1_jEEvDpT3_.has_dyn_sized_stack, 0
	.set _Z6kernelI26subtract_left_partial_tileLj256ELj16ELb1EJPfPiS1_jEEvDpT3_.has_recursion, 0
	.set _Z6kernelI26subtract_left_partial_tileLj256ELj16ELb1EJPfPiS1_jEEvDpT3_.has_indirect_call, 0
	.section	.AMDGPU.csdata,"",@progbits
; Kernel info:
; codeLenInByte = 1284
; TotalNumSgprs: 14
; NumVgprs: 51
; ScratchSize: 0
; MemoryBound: 0
; FloatMode: 240
; IeeeMode: 1
; LDSByteSize: 2048 bytes/workgroup (compile time only)
; SGPRBlocks: 0
; VGPRBlocks: 6
; NumSGPRsForWavesPerEU: 14
; NumVGPRsForWavesPerEU: 51
; Occupancy: 16
; WaveLimiterHint : 1
; COMPUTE_PGM_RSRC2:SCRATCH_EN: 0
; COMPUTE_PGM_RSRC2:USER_SGPR: 2
; COMPUTE_PGM_RSRC2:TRAP_HANDLER: 0
; COMPUTE_PGM_RSRC2:TGID_X_EN: 1
; COMPUTE_PGM_RSRC2:TGID_Y_EN: 0
; COMPUTE_PGM_RSRC2:TGID_Z_EN: 0
; COMPUTE_PGM_RSRC2:TIDIG_COMP_CNT: 0
	.section	.text._Z6kernelI26subtract_left_partial_tileLj256ELj32ELb1EJPfPiS1_jEEvDpT3_,"axG",@progbits,_Z6kernelI26subtract_left_partial_tileLj256ELj32ELb1EJPfPiS1_jEEvDpT3_,comdat
	.protected	_Z6kernelI26subtract_left_partial_tileLj256ELj32ELb1EJPfPiS1_jEEvDpT3_ ; -- Begin function _Z6kernelI26subtract_left_partial_tileLj256ELj32ELb1EJPfPiS1_jEEvDpT3_
	.globl	_Z6kernelI26subtract_left_partial_tileLj256ELj32ELb1EJPfPiS1_jEEvDpT3_
	.p2align	8
	.type	_Z6kernelI26subtract_left_partial_tileLj256ELj32ELb1EJPfPiS1_jEEvDpT3_,@function
_Z6kernelI26subtract_left_partial_tileLj256ELj32ELb1EJPfPiS1_jEEvDpT3_: ; @_Z6kernelI26subtract_left_partial_tileLj256ELj32ELb1EJPfPiS1_jEEvDpT3_
; %bb.0:
	s_load_b128 s[4:7], s[0:1], 0x0
	s_lshl_b32 s10, ttmp9, 13
	s_mov_b32 s11, 0
	v_lshlrev_b32_e32 v33, 2, v0
	s_lshl_b64 s[8:9], s[10:11], 2
	s_load_b96 s[0:2], s[0:1], 0x10
	s_mov_b32 s10, ttmp9
	v_cmp_ne_u32_e32 vcc_lo, 0, v0
	s_lshl_b64 s[10:11], s[10:11], 2
	v_add_nc_u32_e32 v66, -4, v33
	s_wait_kmcnt 0x0
	s_add_nc_u64 s[4:5], s[4:5], s[8:9]
	s_add_nc_u64 s[6:7], s[6:7], s[10:11]
	s_clause 0x1f
	global_load_b32 v31, v33, s[4:5]
	global_load_b32 v30, v33, s[4:5] offset:1024
	global_load_b32 v29, v33, s[4:5] offset:2048
	;; [unrolled: 1-line block ×31, first 2 shown]
	s_cvt_f32_u32 s3, s2
	s_sub_co_i32 s4, 0, s2
	s_delay_alu instid0(SALU_CYCLE_2) | instskip(NEXT) | instid1(TRANS32_DEP_1)
	v_rcp_iflag_f32_e32 v34, s3
	v_readfirstlane_b32 s3, v34
	v_lshlrev_b32_e32 v34, 5, v0
	s_mul_f32 s3, s3, 0x4f7ffffe
	s_delay_alu instid0(VALU_DEP_1)
	v_or_b32_e32 v35, 31, v34
	v_or_b32_e32 v36, 30, v34
	;; [unrolled: 1-line block ×3, first 2 shown]
	s_wait_alu 0xfffe
	s_cvt_u32_f32 s3, s3
	v_or_b32_e32 v38, 28, v34
	v_or_b32_e32 v39, 27, v34
	;; [unrolled: 1-line block ×3, first 2 shown]
	s_wait_alu 0xfffe
	s_mul_i32 s4, s4, s3
	v_or_b32_e32 v41, 25, v34
	s_mul_hi_u32 s5, s3, s4
	s_mov_b32 s4, s0
	s_add_co_i32 s3, s3, s5
	v_or_b32_e32 v42, 24, v34
	s_wait_alu 0xfffe
	s_lshr_b32 s0, s3, 19
	s_load_b32 s3, s[6:7], 0x0
	s_mul_i32 s5, s0, s2
	s_add_co_i32 s6, s0, 1
	s_sub_co_i32 s5, 0x2000, s5
	v_or_b32_e32 v43, 23, v34
	s_sub_co_i32 s7, s5, s2
	s_cmp_ge_u32 s5, s2
	v_or_b32_e32 v44, 22, v34
	s_cselect_b32 s0, s6, s0
	s_cselect_b32 s5, s7, s5
	s_add_co_i32 s6, s0, 1
	s_cmp_ge_u32 s5, s2
	v_or_b32_e32 v45, 21, v34
	v_or_b32_e32 v46, 20, v34
	;; [unrolled: 1-line block ×21, first 2 shown]
	s_cselect_b32 s0, s6, s0
	s_mov_b32 s5, s1
	s_add_co_i32 s1, s0, 1
	s_branch .LBB161_2
.LBB161_1:                              ;   in Loop: Header=BB161_2 Depth=1
	s_wait_alu 0xfffe
	s_or_b32 exec_lo, exec_lo, s0
	v_dual_sub_f32 v68, v32, v1 :: v_dual_sub_f32 v69, v1, v2
	s_wait_kmcnt 0x0
	v_cmp_gt_u32_e64 s0, s3, v35
	v_dual_sub_f32 v70, v2, v3 :: v_dual_sub_f32 v71, v3, v4
	v_dual_sub_f32 v72, v4, v5 :: v_dual_sub_f32 v73, v5, v6
	s_wait_alu 0xf1ff
	s_delay_alu instid0(VALU_DEP_3) | instskip(SKIP_4) | instid1(VALU_DEP_3)
	v_cndmask_b32_e64 v68, v32, v68, s0
	v_cmp_gt_u32_e64 s0, s3, v36
	v_dual_sub_f32 v74, v6, v7 :: v_dual_sub_f32 v75, v7, v8
	v_dual_sub_f32 v76, v8, v9 :: v_dual_sub_f32 v77, v9, v10
	s_wait_alu 0xf1ff
	v_cndmask_b32_e64 v69, v1, v69, s0
	v_cmp_gt_u32_e64 s0, s3, v37
	v_dual_sub_f32 v78, v10, v11 :: v_dual_sub_f32 v79, v11, v12
	v_dual_sub_f32 v80, v12, v13 :: v_dual_sub_f32 v81, v13, v14
	s_wait_alu 0xf1ff
	s_delay_alu instid0(VALU_DEP_3) | instskip(SKIP_4) | instid1(VALU_DEP_3)
	v_cndmask_b32_e64 v70, v2, v70, s0
	v_cmp_gt_u32_e64 s0, s3, v38
	v_dual_sub_f32 v82, v14, v15 :: v_dual_sub_f32 v83, v15, v16
	v_dual_sub_f32 v84, v16, v17 :: v_dual_sub_f32 v85, v17, v18
	s_wait_alu 0xf1ff
	v_cndmask_b32_e64 v71, v3, v71, s0
	v_cmp_gt_u32_e64 s0, s3, v39
	v_dual_sub_f32 v86, v18, v19 :: v_dual_sub_f32 v87, v19, v20
	v_dual_sub_f32 v88, v20, v21 :: v_dual_sub_f32 v89, v21, v22
	s_wait_alu 0xf1ff
	s_delay_alu instid0(VALU_DEP_3)
	v_cndmask_b32_e64 v72, v4, v72, s0
	v_cmp_gt_u32_e64 s0, s3, v40
	v_dual_sub_f32 v90, v22, v23 :: v_dual_sub_f32 v91, v24, v25
	s_wait_dscnt 0x0
	v_dual_sub_f32 v67, v31, v67 :: v_dual_sub_f32 v94, v29, v30
	s_wait_alu 0xf1ff
	v_cndmask_b32_e64 v73, v5, v73, s0
	v_cmp_gt_u32_e64 s0, s3, v41
	v_dual_sub_f32 v92, v23, v24 :: v_dual_sub_f32 v93, v30, v31
	v_add_f32_e32 v3, v3, v71
	s_delay_alu instid0(VALU_DEP_4)
	v_dual_add_f32 v5, v5, v73 :: v_dual_add_f32 v32, v32, v68
	s_wait_alu 0xf1ff
	v_cndmask_b32_e64 v74, v6, v74, s0
	v_cmp_gt_u32_e64 s0, s3, v42
	v_dual_add_f32 v2, v2, v70 :: v_dual_add_f32 v1, v1, v69
	s_add_co_i32 s2, s2, -1
	s_wait_loadcnt 0x0
	v_cndmask_b32_e64 v75, v7, v75, s0
	v_cmp_gt_u32_e64 s0, s3, v43
	s_barrier_signal -1
	s_barrier_wait -1
	global_inv scope:SCOPE_SE
	v_add_f32_e32 v7, v7, v75
	s_wait_alu 0xf1ff
	v_cndmask_b32_e64 v76, v8, v76, s0
	v_cmp_gt_u32_e64 s0, s3, v44
	v_add_f32_e32 v4, v4, v72
	v_add_f32_e32 v6, v6, v74
	s_delay_alu instid0(VALU_DEP_4) | instskip(SKIP_3) | instid1(VALU_DEP_2)
	v_add_f32_e32 v8, v8, v76
	s_wait_alu 0xf1ff
	v_cndmask_b32_e64 v77, v9, v77, s0
	v_cmp_gt_u32_e64 s0, s3, v45
	v_add_f32_e32 v9, v9, v77
	s_wait_alu 0xf1ff
	s_delay_alu instid0(VALU_DEP_2) | instskip(SKIP_1) | instid1(VALU_DEP_2)
	v_cndmask_b32_e64 v78, v10, v78, s0
	v_cmp_gt_u32_e64 s0, s3, v46
	v_add_f32_e32 v10, v10, v78
	s_wait_alu 0xf1ff
	s_delay_alu instid0(VALU_DEP_2) | instskip(SKIP_1) | instid1(VALU_DEP_2)
	;; [unrolled: 5-line block ×13, first 2 shown]
	v_cndmask_b32_e64 v90, v22, v90, s0
	v_cmp_gt_u32_e64 s0, s3, v34
	v_add_f32_e32 v22, v22, v90
	s_wait_alu 0xf1ff
	s_delay_alu instid0(VALU_DEP_2) | instskip(SKIP_2) | instid1(VALU_DEP_1)
	v_cndmask_b32_e64 v67, v31, v67, s0
	v_cmp_gt_u32_e64 s0, s3, v59
	s_wait_alu 0xf1ff
	v_cndmask_b32_e64 v91, v24, v91, s0
	v_cmp_gt_u32_e64 s0, s3, v65
	s_delay_alu instid0(VALU_DEP_2) | instskip(SKIP_1) | instid1(VALU_DEP_2)
	v_add_f32_e32 v24, v24, v91
	s_wait_alu 0xf1ff
	v_cndmask_b32_e64 v93, v30, v93, s0
	v_cmp_gt_u32_e64 s0, s3, v64
	v_add_f32_e32 v31, v31, v67
	v_sub_f32_e32 v67, v28, v29
	s_delay_alu instid0(VALU_DEP_4) | instskip(SKIP_4) | instid1(VALU_DEP_3)
	v_add_f32_e32 v30, v30, v93
	s_wait_alu 0xf1ff
	v_cndmask_b32_e64 v94, v29, v94, s0
	v_cmp_gt_u32_e64 s0, s3, v63
	v_sub_f32_e32 v93, v26, v27
	v_dual_add_f32 v29, v29, v94 :: v_dual_sub_f32 v94, v27, v28
	s_wait_alu 0xf1ff
	s_delay_alu instid0(VALU_DEP_3) | instskip(SKIP_1) | instid1(VALU_DEP_2)
	v_cndmask_b32_e64 v67, v28, v67, s0
	v_cmp_gt_u32_e64 s0, s3, v61
	v_add_f32_e32 v28, v28, v67
	s_wait_alu 0xf1ff
	s_delay_alu instid0(VALU_DEP_2) | instskip(SKIP_1) | instid1(VALU_DEP_2)
	v_cndmask_b32_e64 v93, v26, v93, s0
	v_cmp_gt_u32_e64 s0, s3, v62
	v_dual_sub_f32 v67, v25, v26 :: v_dual_add_f32 v26, v26, v93
	s_wait_alu 0xf1ff
	s_delay_alu instid0(VALU_DEP_2) | instskip(SKIP_1) | instid1(VALU_DEP_2)
	v_cndmask_b32_e64 v94, v27, v94, s0
	v_cmp_gt_u32_e64 s0, s3, v60
	v_add_f32_e32 v27, v27, v94
	s_wait_alu 0xf1ff
	s_delay_alu instid0(VALU_DEP_2) | instskip(SKIP_1) | instid1(VALU_DEP_2)
	v_cndmask_b32_e64 v67, v25, v67, s0
	v_cmp_gt_u32_e64 s0, s3, v58
	v_add_f32_e32 v25, v25, v67
	s_wait_alu 0xf1ff
	s_delay_alu instid0(VALU_DEP_2)
	v_cndmask_b32_e64 v92, v23, v92, s0
	s_add_co_i32 s0, s1, s3
	s_wait_alu 0xfffe
	s_and_b32 s3, s0, 0x1fff
	s_cmp_lg_u32 s2, 0
	v_add_f32_e32 v23, v23, v92
	s_cbranch_scc0 .LBB161_4
.LBB161_2:                              ; =>This Inner Loop Header: Depth=1
	v_mov_b32_e32 v67, 0x42f60000
	s_wait_loadcnt 0x0
	ds_store_b32 v33, v32
	s_wait_dscnt 0x0
	s_barrier_signal -1
	s_barrier_wait -1
	global_inv scope:SCOPE_SE
	s_and_saveexec_b32 s0, vcc_lo
	s_cbranch_execz .LBB161_1
; %bb.3:                                ;   in Loop: Header=BB161_2 Depth=1
	ds_load_b32 v67, v66
	s_branch .LBB161_1
.LBB161_4:
	v_lshlrev_b32_e32 v0, 2, v0
	s_add_nc_u64 s[0:1], s[4:5], s[8:9]
	s_clause 0x1f
	global_store_b32 v0, v31, s[0:1]
	global_store_b32 v0, v30, s[0:1] offset:1024
	global_store_b32 v0, v29, s[0:1] offset:2048
	;; [unrolled: 1-line block ×31, first 2 shown]
	s_endpgm
	.section	.rodata,"a",@progbits
	.p2align	6, 0x0
	.amdhsa_kernel _Z6kernelI26subtract_left_partial_tileLj256ELj32ELb1EJPfPiS1_jEEvDpT3_
		.amdhsa_group_segment_fixed_size 2048
		.amdhsa_private_segment_fixed_size 0
		.amdhsa_kernarg_size 28
		.amdhsa_user_sgpr_count 2
		.amdhsa_user_sgpr_dispatch_ptr 0
		.amdhsa_user_sgpr_queue_ptr 0
		.amdhsa_user_sgpr_kernarg_segment_ptr 1
		.amdhsa_user_sgpr_dispatch_id 0
		.amdhsa_user_sgpr_private_segment_size 0
		.amdhsa_wavefront_size32 1
		.amdhsa_uses_dynamic_stack 0
		.amdhsa_enable_private_segment 0
		.amdhsa_system_sgpr_workgroup_id_x 1
		.amdhsa_system_sgpr_workgroup_id_y 0
		.amdhsa_system_sgpr_workgroup_id_z 0
		.amdhsa_system_sgpr_workgroup_info 0
		.amdhsa_system_vgpr_workitem_id 0
		.amdhsa_next_free_vgpr 95
		.amdhsa_next_free_sgpr 12
		.amdhsa_reserve_vcc 1
		.amdhsa_float_round_mode_32 0
		.amdhsa_float_round_mode_16_64 0
		.amdhsa_float_denorm_mode_32 3
		.amdhsa_float_denorm_mode_16_64 3
		.amdhsa_fp16_overflow 0
		.amdhsa_workgroup_processor_mode 1
		.amdhsa_memory_ordered 1
		.amdhsa_forward_progress 1
		.amdhsa_inst_pref_size 18
		.amdhsa_round_robin_scheduling 0
		.amdhsa_exception_fp_ieee_invalid_op 0
		.amdhsa_exception_fp_denorm_src 0
		.amdhsa_exception_fp_ieee_div_zero 0
		.amdhsa_exception_fp_ieee_overflow 0
		.amdhsa_exception_fp_ieee_underflow 0
		.amdhsa_exception_fp_ieee_inexact 0
		.amdhsa_exception_int_div_zero 0
	.end_amdhsa_kernel
	.section	.text._Z6kernelI26subtract_left_partial_tileLj256ELj32ELb1EJPfPiS1_jEEvDpT3_,"axG",@progbits,_Z6kernelI26subtract_left_partial_tileLj256ELj32ELb1EJPfPiS1_jEEvDpT3_,comdat
.Lfunc_end161:
	.size	_Z6kernelI26subtract_left_partial_tileLj256ELj32ELb1EJPfPiS1_jEEvDpT3_, .Lfunc_end161-_Z6kernelI26subtract_left_partial_tileLj256ELj32ELb1EJPfPiS1_jEEvDpT3_
                                        ; -- End function
	.set _Z6kernelI26subtract_left_partial_tileLj256ELj32ELb1EJPfPiS1_jEEvDpT3_.num_vgpr, 95
	.set _Z6kernelI26subtract_left_partial_tileLj256ELj32ELb1EJPfPiS1_jEEvDpT3_.num_agpr, 0
	.set _Z6kernelI26subtract_left_partial_tileLj256ELj32ELb1EJPfPiS1_jEEvDpT3_.numbered_sgpr, 12
	.set _Z6kernelI26subtract_left_partial_tileLj256ELj32ELb1EJPfPiS1_jEEvDpT3_.num_named_barrier, 0
	.set _Z6kernelI26subtract_left_partial_tileLj256ELj32ELb1EJPfPiS1_jEEvDpT3_.private_seg_size, 0
	.set _Z6kernelI26subtract_left_partial_tileLj256ELj32ELb1EJPfPiS1_jEEvDpT3_.uses_vcc, 1
	.set _Z6kernelI26subtract_left_partial_tileLj256ELj32ELb1EJPfPiS1_jEEvDpT3_.uses_flat_scratch, 0
	.set _Z6kernelI26subtract_left_partial_tileLj256ELj32ELb1EJPfPiS1_jEEvDpT3_.has_dyn_sized_stack, 0
	.set _Z6kernelI26subtract_left_partial_tileLj256ELj32ELb1EJPfPiS1_jEEvDpT3_.has_recursion, 0
	.set _Z6kernelI26subtract_left_partial_tileLj256ELj32ELb1EJPfPiS1_jEEvDpT3_.has_indirect_call, 0
	.section	.AMDGPU.csdata,"",@progbits
; Kernel info:
; codeLenInByte = 2236
; TotalNumSgprs: 14
; NumVgprs: 95
; ScratchSize: 0
; MemoryBound: 0
; FloatMode: 240
; IeeeMode: 1
; LDSByteSize: 2048 bytes/workgroup (compile time only)
; SGPRBlocks: 0
; VGPRBlocks: 11
; NumSGPRsForWavesPerEU: 14
; NumVGPRsForWavesPerEU: 95
; Occupancy: 16
; WaveLimiterHint : 1
; COMPUTE_PGM_RSRC2:SCRATCH_EN: 0
; COMPUTE_PGM_RSRC2:USER_SGPR: 2
; COMPUTE_PGM_RSRC2:TRAP_HANDLER: 0
; COMPUTE_PGM_RSRC2:TGID_X_EN: 1
; COMPUTE_PGM_RSRC2:TGID_Y_EN: 0
; COMPUTE_PGM_RSRC2:TGID_Z_EN: 0
; COMPUTE_PGM_RSRC2:TIDIG_COMP_CNT: 0
	.section	.text._Z6kernelI26subtract_left_partial_tileLj256ELj1ELb1EJPaPiS1_jEEvDpT3_,"axG",@progbits,_Z6kernelI26subtract_left_partial_tileLj256ELj1ELb1EJPaPiS1_jEEvDpT3_,comdat
	.protected	_Z6kernelI26subtract_left_partial_tileLj256ELj1ELb1EJPaPiS1_jEEvDpT3_ ; -- Begin function _Z6kernelI26subtract_left_partial_tileLj256ELj1ELb1EJPaPiS1_jEEvDpT3_
	.globl	_Z6kernelI26subtract_left_partial_tileLj256ELj1ELb1EJPaPiS1_jEEvDpT3_
	.p2align	8
	.type	_Z6kernelI26subtract_left_partial_tileLj256ELj1ELb1EJPaPiS1_jEEvDpT3_,@function
_Z6kernelI26subtract_left_partial_tileLj256ELj1ELb1EJPaPiS1_jEEvDpT3_: ; @_Z6kernelI26subtract_left_partial_tileLj256ELj1ELb1EJPaPiS1_jEEvDpT3_
; %bb.0:
	s_load_b128 s[8:11], s[0:1], 0x0
	s_lshl_b32 s4, ttmp9, 8
	s_mov_b32 s5, 0
	s_load_b96 s[0:2], s[0:1], 0x10
	s_mov_b32 s6, ttmp9
	s_mov_b32 s7, s5
	v_cmp_ne_u32_e32 vcc_lo, 0, v0
	s_lshl_b64 s[6:7], s[6:7], 2
	s_wait_kmcnt 0x0
	s_add_nc_u64 s[8:9], s[8:9], s[4:5]
	s_add_nc_u64 s[6:7], s[10:11], s[6:7]
	global_load_u8 v1, v0, s[8:9]
	s_cvt_f32_u32 s3, s2
	s_sub_co_i32 s8, 0, s2
	s_delay_alu instid0(SALU_CYCLE_2) | instskip(NEXT) | instid1(TRANS32_DEP_1)
	v_rcp_iflag_f32_e32 v2, s3
	v_readfirstlane_b32 s3, v2
	v_add_nc_u32_e32 v2, -1, v0
	s_mul_f32 s3, s3, 0x4f7ffffe
	s_wait_alu 0xfffe
	s_delay_alu instid0(SALU_CYCLE_2) | instskip(SKIP_1) | instid1(SALU_CYCLE_2)
	s_cvt_u32_f32 s3, s3
	s_wait_alu 0xfffe
	s_mul_i32 s8, s8, s3
	s_delay_alu instid0(SALU_CYCLE_1) | instskip(NEXT) | instid1(SALU_CYCLE_1)
	s_mul_hi_u32 s8, s3, s8
	s_add_co_i32 s8, s3, s8
	s_load_b32 s3, s[6:7], 0x0
	s_lshr_b32 s7, s8, 24
	s_delay_alu instid0(SALU_CYCLE_1)
	s_mul_i32 s6, s7, s2
	s_add_co_i32 s9, s7, 1
	s_sub_co_i32 s8, 0x100, s6
	s_mov_b32 s6, s0
	s_sub_co_i32 s10, s8, s2
	s_cmp_ge_u32 s8, s2
	s_cselect_b32 s0, s9, s7
	s_cselect_b32 s7, s10, s8
	s_add_co_i32 s8, s0, 1
	s_cmp_ge_u32 s7, s2
	s_mov_b32 s7, s1
	s_cselect_b32 s0, s8, s0
	s_delay_alu instid0(SALU_CYCLE_1)
	s_add_co_i32 s1, s0, 1
	s_branch .LBB162_2
.LBB162_1:                              ;   in Loop: Header=BB162_2 Depth=1
	s_wait_alu 0xfffe
	s_or_b32 exec_lo, exec_lo, s0
	s_wait_kmcnt 0x0
	v_cmp_gt_u32_e64 s0, s3, v0
	v_lshlrev_b16 v1, 1, v1
	s_add_co_i32 s2, s2, -1
	s_wait_loadcnt_dscnt 0x0
	s_barrier_signal -1
	v_cndmask_b32_e64 v3, 0, v3, s0
	s_add_co_i32 s0, s1, s3
	s_barrier_wait -1
	s_wait_alu 0xfffe
	s_and_b32 s3, s0, 0xff
	s_cmp_lg_u32 s2, 0
	v_sub_nc_u16 v1, v1, v3
	global_inv scope:SCOPE_SE
	s_cbranch_scc0 .LBB162_4
.LBB162_2:                              ; =>This Inner Loop Header: Depth=1
	v_mov_b32_e32 v3, 0x7b
	s_wait_loadcnt 0x0
	ds_store_b8 v0, v1
	s_wait_dscnt 0x0
	s_barrier_signal -1
	s_barrier_wait -1
	global_inv scope:SCOPE_SE
	s_and_saveexec_b32 s0, vcc_lo
	s_cbranch_execz .LBB162_1
; %bb.3:                                ;   in Loop: Header=BB162_2 Depth=1
	ds_load_u8 v3, v2
	s_branch .LBB162_1
.LBB162_4:
	s_add_nc_u64 s[0:1], s[6:7], s[4:5]
	s_wait_alu 0xfffe
	v_add_co_u32 v2, s0, s0, v0
	s_wait_alu 0xf1ff
	v_add_co_ci_u32_e64 v3, null, s1, 0, s0
	global_store_b8 v[2:3], v1, off
	s_endpgm
	.section	.rodata,"a",@progbits
	.p2align	6, 0x0
	.amdhsa_kernel _Z6kernelI26subtract_left_partial_tileLj256ELj1ELb1EJPaPiS1_jEEvDpT3_
		.amdhsa_group_segment_fixed_size 512
		.amdhsa_private_segment_fixed_size 0
		.amdhsa_kernarg_size 28
		.amdhsa_user_sgpr_count 2
		.amdhsa_user_sgpr_dispatch_ptr 0
		.amdhsa_user_sgpr_queue_ptr 0
		.amdhsa_user_sgpr_kernarg_segment_ptr 1
		.amdhsa_user_sgpr_dispatch_id 0
		.amdhsa_user_sgpr_private_segment_size 0
		.amdhsa_wavefront_size32 1
		.amdhsa_uses_dynamic_stack 0
		.amdhsa_enable_private_segment 0
		.amdhsa_system_sgpr_workgroup_id_x 1
		.amdhsa_system_sgpr_workgroup_id_y 0
		.amdhsa_system_sgpr_workgroup_id_z 0
		.amdhsa_system_sgpr_workgroup_info 0
		.amdhsa_system_vgpr_workitem_id 0
		.amdhsa_next_free_vgpr 4
		.amdhsa_next_free_sgpr 12
		.amdhsa_reserve_vcc 1
		.amdhsa_float_round_mode_32 0
		.amdhsa_float_round_mode_16_64 0
		.amdhsa_float_denorm_mode_32 3
		.amdhsa_float_denorm_mode_16_64 3
		.amdhsa_fp16_overflow 0
		.amdhsa_workgroup_processor_mode 1
		.amdhsa_memory_ordered 1
		.amdhsa_forward_progress 1
		.amdhsa_inst_pref_size 4
		.amdhsa_round_robin_scheduling 0
		.amdhsa_exception_fp_ieee_invalid_op 0
		.amdhsa_exception_fp_denorm_src 0
		.amdhsa_exception_fp_ieee_div_zero 0
		.amdhsa_exception_fp_ieee_overflow 0
		.amdhsa_exception_fp_ieee_underflow 0
		.amdhsa_exception_fp_ieee_inexact 0
		.amdhsa_exception_int_div_zero 0
	.end_amdhsa_kernel
	.section	.text._Z6kernelI26subtract_left_partial_tileLj256ELj1ELb1EJPaPiS1_jEEvDpT3_,"axG",@progbits,_Z6kernelI26subtract_left_partial_tileLj256ELj1ELb1EJPaPiS1_jEEvDpT3_,comdat
.Lfunc_end162:
	.size	_Z6kernelI26subtract_left_partial_tileLj256ELj1ELb1EJPaPiS1_jEEvDpT3_, .Lfunc_end162-_Z6kernelI26subtract_left_partial_tileLj256ELj1ELb1EJPaPiS1_jEEvDpT3_
                                        ; -- End function
	.set _Z6kernelI26subtract_left_partial_tileLj256ELj1ELb1EJPaPiS1_jEEvDpT3_.num_vgpr, 4
	.set _Z6kernelI26subtract_left_partial_tileLj256ELj1ELb1EJPaPiS1_jEEvDpT3_.num_agpr, 0
	.set _Z6kernelI26subtract_left_partial_tileLj256ELj1ELb1EJPaPiS1_jEEvDpT3_.numbered_sgpr, 12
	.set _Z6kernelI26subtract_left_partial_tileLj256ELj1ELb1EJPaPiS1_jEEvDpT3_.num_named_barrier, 0
	.set _Z6kernelI26subtract_left_partial_tileLj256ELj1ELb1EJPaPiS1_jEEvDpT3_.private_seg_size, 0
	.set _Z6kernelI26subtract_left_partial_tileLj256ELj1ELb1EJPaPiS1_jEEvDpT3_.uses_vcc, 1
	.set _Z6kernelI26subtract_left_partial_tileLj256ELj1ELb1EJPaPiS1_jEEvDpT3_.uses_flat_scratch, 0
	.set _Z6kernelI26subtract_left_partial_tileLj256ELj1ELb1EJPaPiS1_jEEvDpT3_.has_dyn_sized_stack, 0
	.set _Z6kernelI26subtract_left_partial_tileLj256ELj1ELb1EJPaPiS1_jEEvDpT3_.has_recursion, 0
	.set _Z6kernelI26subtract_left_partial_tileLj256ELj1ELb1EJPaPiS1_jEEvDpT3_.has_indirect_call, 0
	.section	.AMDGPU.csdata,"",@progbits
; Kernel info:
; codeLenInByte = 412
; TotalNumSgprs: 14
; NumVgprs: 4
; ScratchSize: 0
; MemoryBound: 0
; FloatMode: 240
; IeeeMode: 1
; LDSByteSize: 512 bytes/workgroup (compile time only)
; SGPRBlocks: 0
; VGPRBlocks: 0
; NumSGPRsForWavesPerEU: 14
; NumVGPRsForWavesPerEU: 4
; Occupancy: 16
; WaveLimiterHint : 0
; COMPUTE_PGM_RSRC2:SCRATCH_EN: 0
; COMPUTE_PGM_RSRC2:USER_SGPR: 2
; COMPUTE_PGM_RSRC2:TRAP_HANDLER: 0
; COMPUTE_PGM_RSRC2:TGID_X_EN: 1
; COMPUTE_PGM_RSRC2:TGID_Y_EN: 0
; COMPUTE_PGM_RSRC2:TGID_Z_EN: 0
; COMPUTE_PGM_RSRC2:TIDIG_COMP_CNT: 0
	.section	.text._Z6kernelI26subtract_left_partial_tileLj256ELj3ELb1EJPaPiS1_jEEvDpT3_,"axG",@progbits,_Z6kernelI26subtract_left_partial_tileLj256ELj3ELb1EJPaPiS1_jEEvDpT3_,comdat
	.protected	_Z6kernelI26subtract_left_partial_tileLj256ELj3ELb1EJPaPiS1_jEEvDpT3_ ; -- Begin function _Z6kernelI26subtract_left_partial_tileLj256ELj3ELb1EJPaPiS1_jEEvDpT3_
	.globl	_Z6kernelI26subtract_left_partial_tileLj256ELj3ELb1EJPaPiS1_jEEvDpT3_
	.p2align	8
	.type	_Z6kernelI26subtract_left_partial_tileLj256ELj3ELb1EJPaPiS1_jEEvDpT3_,@function
_Z6kernelI26subtract_left_partial_tileLj256ELj3ELb1EJPaPiS1_jEEvDpT3_: ; @_Z6kernelI26subtract_left_partial_tileLj256ELj3ELb1EJPaPiS1_jEEvDpT3_
; %bb.0:
	s_load_b128 s[4:7], s[0:1], 0x0
	s_mul_i32 s8, ttmp9, 0x300
	s_mov_b32 s9, 0
	s_load_b96 s[0:2], s[0:1], 0x10
	s_mov_b32 s10, ttmp9
	s_mov_b32 s11, s9
	v_dual_mov_b32 v2, 0 :: v_dual_add_nc_u32 v5, -1, v0
	v_mad_u32_u24 v3, v0, 3, 2
	v_mad_u32_u24 v4, v0, 3, 1
	v_cmp_ne_u32_e32 vcc_lo, 0, v0
	s_wait_kmcnt 0x0
	s_add_nc_u64 s[4:5], s[4:5], s[8:9]
	s_clause 0x2
	global_load_u8 v6, v0, s[4:5] offset:256
	global_load_u8 v7, v0, s[4:5] offset:512
	global_load_u8 v8, v0, s[4:5]
	s_cvt_f32_u32 s3, s2
	s_lshl_b64 s[4:5], s[10:11], 2
	s_sub_co_i32 s10, 0, s2
	s_add_nc_u64 s[4:5], s[6:7], s[4:5]
	v_rcp_iflag_f32_e32 v1, s3
	s_delay_alu instid0(TRANS32_DEP_1) | instskip(SKIP_3) | instid1(SALU_CYCLE_2)
	v_readfirstlane_b32 s3, v1
	v_mul_u32_u24_e32 v1, 3, v0
	s_mul_f32 s3, s3, 0x4f7ffffe
	s_wait_alu 0xfffe
	s_cvt_u32_f32 s3, s3
	s_wait_alu 0xfffe
	s_delay_alu instid0(SALU_CYCLE_2) | instskip(NEXT) | instid1(SALU_CYCLE_1)
	s_mul_i32 s10, s10, s3
	s_mul_hi_u32 s10, s3, s10
	s_delay_alu instid0(SALU_CYCLE_1) | instskip(SKIP_4) | instid1(SALU_CYCLE_1)
	s_add_co_i32 s6, s3, s10
	s_load_b32 s3, s[4:5], 0x0
	s_mul_hi_u32 s5, s6, 0x300
	s_mov_b32 s4, s0
	s_mul_i32 s6, s5, s2
	s_sub_co_i32 s0, 0x300, s6
	s_add_co_i32 s6, s5, 1
	s_sub_co_i32 s7, s0, s2
	s_cmp_ge_u32 s0, s2
	s_cselect_b32 s5, s6, s5
	s_cselect_b32 s0, s7, s0
	s_add_co_i32 s6, s5, 1
	s_cmp_ge_u32 s0, s2
	s_cselect_b32 s0, s6, s5
	s_mov_b32 s5, s1
	s_add_co_i32 s1, s0, 1
	s_wait_loadcnt 0x0
	v_perm_b32 v6, v8, v6, 0xc0c0004
	s_delay_alu instid0(VALU_DEP_1)
	v_lshl_or_b32 v6, v7, 16, v6
	v_mov_b32_e32 v7, 0
	s_branch .LBB163_2
.LBB163_1:                              ;   in Loop: Header=BB163_2 Depth=1
	s_wait_alu 0xfffe
	s_or_b32 exec_lo, exec_lo, s0
	v_lshrrev_b32_e32 v10, 8, v6
	v_and_b32_e32 v12, 0xffff0000, v6
	s_wait_kmcnt 0x0
	v_cmp_gt_u32_e64 s0, s3, v3
	v_perm_b32 v2, v2, v7, 0xc0c0004
	s_add_co_i32 s2, s2, -1
	v_sub_nc_u16 v11, v8, v10
	v_sub_nc_u16 v7, v10, v6
	s_wait_loadcnt_dscnt 0x0
	s_barrier_signal -1
	s_barrier_wait -1
	v_perm_b32 v11, v11, v6, 0xc0c0304
	v_lshlrev_b16 v7, 8, v7
	global_inv scope:SCOPE_SE
	v_lshlrev_b32_e32 v11, 16, v11
	v_and_b32_e32 v7, 0xffff, v7
	s_delay_alu instid0(VALU_DEP_2) | instskip(SKIP_1) | instid1(VALU_DEP_2)
	v_cndmask_b32_e64 v11, v12, v11, s0
	v_cmp_gt_u32_e64 s0, s3, v4
	v_or_b32_e32 v2, v2, v11
	s_delay_alu instid0(VALU_DEP_1) | instskip(SKIP_1) | instid1(VALU_DEP_1)
	v_perm_b32 v12, v2, v6, 0xc0c0104
	s_wait_alu 0xf1ff
	v_cndmask_b32_e64 v7, v12, v7, s0
	v_cmp_gt_u32_e64 s0, s3, v1
	s_delay_alu instid0(VALU_DEP_2) | instskip(SKIP_1) | instid1(VALU_DEP_2)
	v_and_or_b32 v7, 0xff0000, v2, v7
	s_wait_alu 0xf1ff
	v_cndmask_b32_e64 v9, 0, v9, s0
	s_add_co_i32 s0, s1, s3
	s_wait_alu 0xfffe
	s_mul_hi_u32 s3, s0, 0xaaaaaaab
	v_lshrrev_b32_e32 v7, 8, v7
	v_sub_nc_u16 v2, v6, v9
	s_wait_alu 0xfffe
	s_lshr_b32 s3, s3, 9
	s_wait_alu 0xfffe
	s_mulk_i32 s3, 0x300
	v_add_nc_u16 v10, v7, v10
	v_add_nc_u16 v9, v2, v6
	v_lshrrev_b32_e32 v6, 16, v11
	s_wait_alu 0xfffe
	s_sub_co_i32 s3, s0, s3
	s_cmp_lg_u32 s2, 0
	v_and_b32_e32 v11, 0xff, v9
	v_add_nc_u16 v8, v6, v8
	v_lshlrev_b16 v6, 8, v10
	s_delay_alu instid0(VALU_DEP_2) | instskip(NEXT) | instid1(VALU_DEP_2)
	v_and_b32_e32 v12, 0xff, v8
	v_or_b32_e32 v6, v11, v6
	s_delay_alu instid0(VALU_DEP_2) | instskip(NEXT) | instid1(VALU_DEP_2)
	v_lshlrev_b32_e32 v11, 16, v12
	v_and_b32_e32 v6, 0xffff, v6
	s_delay_alu instid0(VALU_DEP_1)
	v_or_b32_e32 v6, v6, v11
	s_cbranch_scc0 .LBB163_4
.LBB163_2:                              ; =>This Inner Loop Header: Depth=1
	s_delay_alu instid0(VALU_DEP_1)
	v_lshrrev_b32_e32 v8, 16, v6
	v_mov_b32_e32 v9, 0x7b
	ds_store_b8 v0, v8
	s_wait_dscnt 0x0
	s_barrier_signal -1
	s_barrier_wait -1
	global_inv scope:SCOPE_SE
	s_and_saveexec_b32 s0, vcc_lo
	s_cbranch_execz .LBB163_1
; %bb.3:                                ;   in Loop: Header=BB163_2 Depth=1
	ds_load_u8 v9, v5
	s_branch .LBB163_1
.LBB163_4:
	s_add_nc_u64 s[0:1], s[4:5], s[8:9]
	s_wait_alu 0xfffe
	v_add_co_u32 v0, s0, s0, v0
	s_wait_alu 0xf1ff
	v_add_co_ci_u32_e64 v1, null, s1, 0, s0
	s_clause 0x2
	global_store_b8 v[0:1], v9, off
	global_store_b8 v[0:1], v10, off offset:256
	global_store_b8 v[0:1], v8, off offset:512
	s_endpgm
	.section	.rodata,"a",@progbits
	.p2align	6, 0x0
	.amdhsa_kernel _Z6kernelI26subtract_left_partial_tileLj256ELj3ELb1EJPaPiS1_jEEvDpT3_
		.amdhsa_group_segment_fixed_size 512
		.amdhsa_private_segment_fixed_size 0
		.amdhsa_kernarg_size 28
		.amdhsa_user_sgpr_count 2
		.amdhsa_user_sgpr_dispatch_ptr 0
		.amdhsa_user_sgpr_queue_ptr 0
		.amdhsa_user_sgpr_kernarg_segment_ptr 1
		.amdhsa_user_sgpr_dispatch_id 0
		.amdhsa_user_sgpr_private_segment_size 0
		.amdhsa_wavefront_size32 1
		.amdhsa_uses_dynamic_stack 0
		.amdhsa_enable_private_segment 0
		.amdhsa_system_sgpr_workgroup_id_x 1
		.amdhsa_system_sgpr_workgroup_id_y 0
		.amdhsa_system_sgpr_workgroup_id_z 0
		.amdhsa_system_sgpr_workgroup_info 0
		.amdhsa_system_vgpr_workitem_id 0
		.amdhsa_next_free_vgpr 13
		.amdhsa_next_free_sgpr 12
		.amdhsa_reserve_vcc 1
		.amdhsa_float_round_mode_32 0
		.amdhsa_float_round_mode_16_64 0
		.amdhsa_float_denorm_mode_32 3
		.amdhsa_float_denorm_mode_16_64 3
		.amdhsa_fp16_overflow 0
		.amdhsa_workgroup_processor_mode 1
		.amdhsa_memory_ordered 1
		.amdhsa_forward_progress 1
		.amdhsa_inst_pref_size 7
		.amdhsa_round_robin_scheduling 0
		.amdhsa_exception_fp_ieee_invalid_op 0
		.amdhsa_exception_fp_denorm_src 0
		.amdhsa_exception_fp_ieee_div_zero 0
		.amdhsa_exception_fp_ieee_overflow 0
		.amdhsa_exception_fp_ieee_underflow 0
		.amdhsa_exception_fp_ieee_inexact 0
		.amdhsa_exception_int_div_zero 0
	.end_amdhsa_kernel
	.section	.text._Z6kernelI26subtract_left_partial_tileLj256ELj3ELb1EJPaPiS1_jEEvDpT3_,"axG",@progbits,_Z6kernelI26subtract_left_partial_tileLj256ELj3ELb1EJPaPiS1_jEEvDpT3_,comdat
.Lfunc_end163:
	.size	_Z6kernelI26subtract_left_partial_tileLj256ELj3ELb1EJPaPiS1_jEEvDpT3_, .Lfunc_end163-_Z6kernelI26subtract_left_partial_tileLj256ELj3ELb1EJPaPiS1_jEEvDpT3_
                                        ; -- End function
	.set _Z6kernelI26subtract_left_partial_tileLj256ELj3ELb1EJPaPiS1_jEEvDpT3_.num_vgpr, 13
	.set _Z6kernelI26subtract_left_partial_tileLj256ELj3ELb1EJPaPiS1_jEEvDpT3_.num_agpr, 0
	.set _Z6kernelI26subtract_left_partial_tileLj256ELj3ELb1EJPaPiS1_jEEvDpT3_.numbered_sgpr, 12
	.set _Z6kernelI26subtract_left_partial_tileLj256ELj3ELb1EJPaPiS1_jEEvDpT3_.num_named_barrier, 0
	.set _Z6kernelI26subtract_left_partial_tileLj256ELj3ELb1EJPaPiS1_jEEvDpT3_.private_seg_size, 0
	.set _Z6kernelI26subtract_left_partial_tileLj256ELj3ELb1EJPaPiS1_jEEvDpT3_.uses_vcc, 1
	.set _Z6kernelI26subtract_left_partial_tileLj256ELj3ELb1EJPaPiS1_jEEvDpT3_.uses_flat_scratch, 0
	.set _Z6kernelI26subtract_left_partial_tileLj256ELj3ELb1EJPaPiS1_jEEvDpT3_.has_dyn_sized_stack, 0
	.set _Z6kernelI26subtract_left_partial_tileLj256ELj3ELb1EJPaPiS1_jEEvDpT3_.has_recursion, 0
	.set _Z6kernelI26subtract_left_partial_tileLj256ELj3ELb1EJPaPiS1_jEEvDpT3_.has_indirect_call, 0
	.section	.AMDGPU.csdata,"",@progbits
; Kernel info:
; codeLenInByte = 784
; TotalNumSgprs: 14
; NumVgprs: 13
; ScratchSize: 0
; MemoryBound: 0
; FloatMode: 240
; IeeeMode: 1
; LDSByteSize: 512 bytes/workgroup (compile time only)
; SGPRBlocks: 0
; VGPRBlocks: 1
; NumSGPRsForWavesPerEU: 14
; NumVGPRsForWavesPerEU: 13
; Occupancy: 16
; WaveLimiterHint : 1
; COMPUTE_PGM_RSRC2:SCRATCH_EN: 0
; COMPUTE_PGM_RSRC2:USER_SGPR: 2
; COMPUTE_PGM_RSRC2:TRAP_HANDLER: 0
; COMPUTE_PGM_RSRC2:TGID_X_EN: 1
; COMPUTE_PGM_RSRC2:TGID_Y_EN: 0
; COMPUTE_PGM_RSRC2:TGID_Z_EN: 0
; COMPUTE_PGM_RSRC2:TIDIG_COMP_CNT: 0
	.section	.text._Z6kernelI26subtract_left_partial_tileLj256ELj4ELb1EJPaPiS1_jEEvDpT3_,"axG",@progbits,_Z6kernelI26subtract_left_partial_tileLj256ELj4ELb1EJPaPiS1_jEEvDpT3_,comdat
	.protected	_Z6kernelI26subtract_left_partial_tileLj256ELj4ELb1EJPaPiS1_jEEvDpT3_ ; -- Begin function _Z6kernelI26subtract_left_partial_tileLj256ELj4ELb1EJPaPiS1_jEEvDpT3_
	.globl	_Z6kernelI26subtract_left_partial_tileLj256ELj4ELb1EJPaPiS1_jEEvDpT3_
	.p2align	8
	.type	_Z6kernelI26subtract_left_partial_tileLj256ELj4ELb1EJPaPiS1_jEEvDpT3_,@function
_Z6kernelI26subtract_left_partial_tileLj256ELj4ELb1EJPaPiS1_jEEvDpT3_: ; @_Z6kernelI26subtract_left_partial_tileLj256ELj4ELb1EJPaPiS1_jEEvDpT3_
; %bb.0:
	s_load_b128 s[4:7], s[0:1], 0x0
	s_lshl_b32 s8, ttmp9, 10
	s_mov_b32 s9, 0
	s_load_b96 s[0:2], s[0:1], 0x10
	s_mov_b32 s10, ttmp9
	s_mov_b32 s11, s9
	v_dual_mov_b32 v2, 0 :: v_dual_mov_b32 v9, 0
	v_add_nc_u32_e32 v3, -1, v0
	v_cmp_ne_u32_e32 vcc_lo, 0, v0
	s_wait_kmcnt 0x0
	s_add_nc_u64 s[4:5], s[4:5], s[8:9]
	s_clause 0x3
	global_load_u8 v7, v0, s[4:5] offset:256
	global_load_u8 v8, v0, s[4:5] offset:512
	global_load_u8 v10, v0, s[4:5]
	global_load_u8 v11, v0, s[4:5] offset:768
	s_cvt_f32_u32 s3, s2
	s_lshl_b64 s[4:5], s[10:11], 2
	s_sub_co_i32 s10, 0, s2
	s_add_nc_u64 s[4:5], s[6:7], s[4:5]
	v_rcp_iflag_f32_e32 v1, s3
	s_delay_alu instid0(TRANS32_DEP_1) | instskip(SKIP_3) | instid1(SALU_CYCLE_2)
	v_readfirstlane_b32 s3, v1
	v_lshlrev_b32_e32 v1, 2, v0
	s_mul_f32 s3, s3, 0x4f7ffffe
	s_wait_alu 0xfffe
	s_cvt_u32_f32 s3, s3
	s_wait_alu 0xfffe
	s_delay_alu instid0(SALU_CYCLE_2) | instskip(NEXT) | instid1(SALU_CYCLE_1)
	s_mul_i32 s10, s10, s3
	s_mul_hi_u32 s10, s3, s10
	s_delay_alu instid0(SALU_CYCLE_1) | instskip(SKIP_4) | instid1(SALU_CYCLE_1)
	s_add_co_i32 s6, s3, s10
	s_load_b32 s3, s[4:5], 0x0
	s_lshr_b32 s5, s6, 22
	s_mov_b32 s4, s0
	s_mul_i32 s6, s5, s2
	s_sub_co_i32 s0, 0x400, s6
	s_add_co_i32 s6, s5, 1
	s_sub_co_i32 s7, s0, s2
	s_cmp_ge_u32 s0, s2
	s_cselect_b32 s5, s6, s5
	s_cselect_b32 s0, s7, s0
	s_add_co_i32 s6, s5, 1
	s_cmp_ge_u32 s0, s2
	s_cselect_b32 s0, s6, s5
	s_mov_b32 s5, s1
	s_add_co_i32 s1, s0, 1
	s_wait_loadcnt 0x1
	v_perm_b32 v7, v10, v7, 0xc0c0004
	s_wait_loadcnt 0x0
	v_perm_b32 v8, v8, v11, 0xc0c0004
	s_delay_alu instid0(VALU_DEP_1)
	v_lshl_or_b32 v7, v8, 16, v7
	v_mov_b32_e32 v8, 0
	v_or_b32_e32 v4, 3, v1
	v_or_b32_e32 v5, 2, v1
	;; [unrolled: 1-line block ×3, first 2 shown]
	s_branch .LBB164_2
.LBB164_1:                              ;   in Loop: Header=BB164_2 Depth=1
	s_wait_alu 0xfffe
	s_or_b32 exec_lo, exec_lo, s0
	v_lshrrev_b32_e32 v12, 16, v7
	v_and_b32_e32 v14, 0xff, v8
	v_perm_b32 v8, v8, v7, 0xc0c0304
	s_wait_kmcnt 0x0
	v_cmp_gt_u32_e64 s0, s3, v4
	v_perm_b32 v2, v2, v9, 0xc0c0004
	v_sub_nc_u16 v13, v10, v12
	v_lshrrev_b32_e32 v9, 8, v7
	s_add_co_i32 s2, s2, -1
	s_wait_loadcnt_dscnt 0x0
	s_barrier_signal -1
	v_lshlrev_b16 v13, 8, v13
	s_barrier_wait -1
	global_inv scope:SCOPE_SE
	v_or_b32_e32 v13, v14, v13
	s_delay_alu instid0(VALU_DEP_1) | instskip(SKIP_1) | instid1(VALU_DEP_2)
	v_cndmask_b32_e64 v8, v8, v13, s0
	v_cmp_gt_u32_e64 s0, s3, v5
	v_lshl_or_b32 v13, v8, 16, v2
	v_sub_nc_u16 v8, v12, v9
	v_sub_nc_u16 v9, v9, v7
	v_and_b32_e32 v2, 0xff, v2
	s_delay_alu instid0(VALU_DEP_4) | instskip(NEXT) | instid1(VALU_DEP_4)
	v_perm_b32 v14, v7, v13, 0xc0c0306
	v_perm_b32 v8, v8, v13, 0xc0c0304
	s_delay_alu instid0(VALU_DEP_4) | instskip(SKIP_1) | instid1(VALU_DEP_2)
	v_lshlrev_b16 v9, 8, v9
	s_wait_alu 0xf1ff
	v_cndmask_b32_e64 v8, v14, v8, s0
	s_delay_alu instid0(VALU_DEP_2) | instskip(SKIP_1) | instid1(VALU_DEP_3)
	v_or_b32_e32 v2, v2, v9
	v_cmp_gt_u32_e64 s0, s3, v1
	v_lshlrev_b32_e32 v14, 16, v8
	s_delay_alu instid0(VALU_DEP_3) | instskip(SKIP_1) | instid1(VALU_DEP_3)
	v_and_b32_e32 v2, 0xffff, v2
	s_wait_alu 0xf1ff
	v_cndmask_b32_e64 v11, 0, v11, s0
	v_cmp_gt_u32_e64 s0, s3, v6
	v_add_nc_u16 v12, v8, v12
	v_and_or_b32 v9, 0xffff, v13, v14
	v_bfe_u32 v14, v8, 8, 8
	s_delay_alu instid0(VALU_DEP_3) | instskip(NEXT) | instid1(VALU_DEP_3)
	v_and_b32_e32 v12, 0xff, v12
	v_perm_b32 v13, v9, v7, 0xc0c0104
	s_delay_alu instid0(VALU_DEP_3) | instskip(SKIP_1) | instid1(VALU_DEP_2)
	v_add_nc_u16 v10, v14, v10
	s_wait_alu 0xf1ff
	v_cndmask_b32_e64 v13, v13, v2, s0
	v_sub_nc_u16 v2, v7, v11
	v_lshrrev_b16 v11, 8, v7
	v_lshlrev_b16 v10, 8, v10
	s_add_co_i32 s0, s1, s3
	v_lshrrev_b16 v15, 8, v13
	v_add_nc_u16 v7, v2, v7
	v_and_or_b32 v9, 0xff0000, v9, v13
	v_or_b32_e32 v10, v12, v10
	s_wait_alu 0xfffe
	s_and_b32 s3, s0, 0x3ff
	v_add_nc_u16 v11, v15, v11
	v_and_b32_e32 v7, 0xff, v7
	v_lshrrev_b32_e32 v9, 8, v9
	v_lshlrev_b32_e32 v10, 16, v10
	s_cmp_lg_u32 s2, 0
	v_lshlrev_b16 v11, 8, v11
	s_delay_alu instid0(VALU_DEP_1) | instskip(NEXT) | instid1(VALU_DEP_1)
	v_or_b32_e32 v7, v7, v11
	v_and_b32_e32 v7, 0xffff, v7
	s_delay_alu instid0(VALU_DEP_1)
	v_or_b32_e32 v7, v7, v10
	s_cbranch_scc0 .LBB164_4
.LBB164_2:                              ; =>This Inner Loop Header: Depth=1
	s_delay_alu instid0(VALU_DEP_1)
	v_lshrrev_b32_e32 v10, 24, v7
	v_mov_b32_e32 v11, 0x7b
	ds_store_b8 v0, v10
	s_wait_dscnt 0x0
	s_barrier_signal -1
	s_barrier_wait -1
	global_inv scope:SCOPE_SE
	s_and_saveexec_b32 s0, vcc_lo
	s_cbranch_execz .LBB164_1
; %bb.3:                                ;   in Loop: Header=BB164_2 Depth=1
	ds_load_u8 v11, v3
	s_branch .LBB164_1
.LBB164_4:
	s_add_nc_u64 s[0:1], s[4:5], s[8:9]
	s_delay_alu instid0(VALU_DEP_1)
	v_lshrrev_b32_e32 v2, 8, v7
	s_wait_alu 0xfffe
	v_add_co_u32 v0, s0, s0, v0
	s_wait_alu 0xf1ff
	v_add_co_ci_u32_e64 v1, null, s1, 0, s0
	v_lshrrev_b32_e32 v3, 24, v7
	s_clause 0x3
	global_store_b8 v[0:1], v7, off
	global_store_b8 v[0:1], v2, off offset:256
	global_store_d16_hi_b8 v[0:1], v7, off offset:512
	global_store_b8 v[0:1], v3, off offset:768
	s_endpgm
	.section	.rodata,"a",@progbits
	.p2align	6, 0x0
	.amdhsa_kernel _Z6kernelI26subtract_left_partial_tileLj256ELj4ELb1EJPaPiS1_jEEvDpT3_
		.amdhsa_group_segment_fixed_size 512
		.amdhsa_private_segment_fixed_size 0
		.amdhsa_kernarg_size 28
		.amdhsa_user_sgpr_count 2
		.amdhsa_user_sgpr_dispatch_ptr 0
		.amdhsa_user_sgpr_queue_ptr 0
		.amdhsa_user_sgpr_kernarg_segment_ptr 1
		.amdhsa_user_sgpr_dispatch_id 0
		.amdhsa_user_sgpr_private_segment_size 0
		.amdhsa_wavefront_size32 1
		.amdhsa_uses_dynamic_stack 0
		.amdhsa_enable_private_segment 0
		.amdhsa_system_sgpr_workgroup_id_x 1
		.amdhsa_system_sgpr_workgroup_id_y 0
		.amdhsa_system_sgpr_workgroup_id_z 0
		.amdhsa_system_sgpr_workgroup_info 0
		.amdhsa_system_vgpr_workitem_id 0
		.amdhsa_next_free_vgpr 16
		.amdhsa_next_free_sgpr 12
		.amdhsa_reserve_vcc 1
		.amdhsa_float_round_mode_32 0
		.amdhsa_float_round_mode_16_64 0
		.amdhsa_float_denorm_mode_32 3
		.amdhsa_float_denorm_mode_16_64 3
		.amdhsa_fp16_overflow 0
		.amdhsa_workgroup_processor_mode 1
		.amdhsa_memory_ordered 1
		.amdhsa_forward_progress 1
		.amdhsa_inst_pref_size 8
		.amdhsa_round_robin_scheduling 0
		.amdhsa_exception_fp_ieee_invalid_op 0
		.amdhsa_exception_fp_denorm_src 0
		.amdhsa_exception_fp_ieee_div_zero 0
		.amdhsa_exception_fp_ieee_overflow 0
		.amdhsa_exception_fp_ieee_underflow 0
		.amdhsa_exception_fp_ieee_inexact 0
		.amdhsa_exception_int_div_zero 0
	.end_amdhsa_kernel
	.section	.text._Z6kernelI26subtract_left_partial_tileLj256ELj4ELb1EJPaPiS1_jEEvDpT3_,"axG",@progbits,_Z6kernelI26subtract_left_partial_tileLj256ELj4ELb1EJPaPiS1_jEEvDpT3_,comdat
.Lfunc_end164:
	.size	_Z6kernelI26subtract_left_partial_tileLj256ELj4ELb1EJPaPiS1_jEEvDpT3_, .Lfunc_end164-_Z6kernelI26subtract_left_partial_tileLj256ELj4ELb1EJPaPiS1_jEEvDpT3_
                                        ; -- End function
	.set _Z6kernelI26subtract_left_partial_tileLj256ELj4ELb1EJPaPiS1_jEEvDpT3_.num_vgpr, 16
	.set _Z6kernelI26subtract_left_partial_tileLj256ELj4ELb1EJPaPiS1_jEEvDpT3_.num_agpr, 0
	.set _Z6kernelI26subtract_left_partial_tileLj256ELj4ELb1EJPaPiS1_jEEvDpT3_.numbered_sgpr, 12
	.set _Z6kernelI26subtract_left_partial_tileLj256ELj4ELb1EJPaPiS1_jEEvDpT3_.num_named_barrier, 0
	.set _Z6kernelI26subtract_left_partial_tileLj256ELj4ELb1EJPaPiS1_jEEvDpT3_.private_seg_size, 0
	.set _Z6kernelI26subtract_left_partial_tileLj256ELj4ELb1EJPaPiS1_jEEvDpT3_.uses_vcc, 1
	.set _Z6kernelI26subtract_left_partial_tileLj256ELj4ELb1EJPaPiS1_jEEvDpT3_.uses_flat_scratch, 0
	.set _Z6kernelI26subtract_left_partial_tileLj256ELj4ELb1EJPaPiS1_jEEvDpT3_.has_dyn_sized_stack, 0
	.set _Z6kernelI26subtract_left_partial_tileLj256ELj4ELb1EJPaPiS1_jEEvDpT3_.has_recursion, 0
	.set _Z6kernelI26subtract_left_partial_tileLj256ELj4ELb1EJPaPiS1_jEEvDpT3_.has_indirect_call, 0
	.section	.AMDGPU.csdata,"",@progbits
; Kernel info:
; codeLenInByte = 952
; TotalNumSgprs: 14
; NumVgprs: 16
; ScratchSize: 0
; MemoryBound: 0
; FloatMode: 240
; IeeeMode: 1
; LDSByteSize: 512 bytes/workgroup (compile time only)
; SGPRBlocks: 0
; VGPRBlocks: 1
; NumSGPRsForWavesPerEU: 14
; NumVGPRsForWavesPerEU: 16
; Occupancy: 16
; WaveLimiterHint : 1
; COMPUTE_PGM_RSRC2:SCRATCH_EN: 0
; COMPUTE_PGM_RSRC2:USER_SGPR: 2
; COMPUTE_PGM_RSRC2:TRAP_HANDLER: 0
; COMPUTE_PGM_RSRC2:TGID_X_EN: 1
; COMPUTE_PGM_RSRC2:TGID_Y_EN: 0
; COMPUTE_PGM_RSRC2:TGID_Z_EN: 0
; COMPUTE_PGM_RSRC2:TIDIG_COMP_CNT: 0
	.section	.text._Z6kernelI26subtract_left_partial_tileLj256ELj8ELb1EJPaPiS1_jEEvDpT3_,"axG",@progbits,_Z6kernelI26subtract_left_partial_tileLj256ELj8ELb1EJPaPiS1_jEEvDpT3_,comdat
	.protected	_Z6kernelI26subtract_left_partial_tileLj256ELj8ELb1EJPaPiS1_jEEvDpT3_ ; -- Begin function _Z6kernelI26subtract_left_partial_tileLj256ELj8ELb1EJPaPiS1_jEEvDpT3_
	.globl	_Z6kernelI26subtract_left_partial_tileLj256ELj8ELb1EJPaPiS1_jEEvDpT3_
	.p2align	8
	.type	_Z6kernelI26subtract_left_partial_tileLj256ELj8ELb1EJPaPiS1_jEEvDpT3_,@function
_Z6kernelI26subtract_left_partial_tileLj256ELj8ELb1EJPaPiS1_jEEvDpT3_: ; @_Z6kernelI26subtract_left_partial_tileLj256ELj8ELb1EJPaPiS1_jEEvDpT3_
; %bb.0:
	s_load_b128 s[4:7], s[0:1], 0x0
	s_lshl_b32 s8, ttmp9, 11
	s_mov_b32 s9, 0
	s_load_b96 s[0:2], s[0:1], 0x10
	s_mov_b32 s10, ttmp9
	s_mov_b32 s11, s9
	v_dual_mov_b32 v3, 0 :: v_dual_add_nc_u32 v6, -1, v0
	v_cmp_ne_u32_e32 vcc_lo, 0, v0
	s_wait_kmcnt 0x0
	s_add_nc_u64 s[4:5], s[4:5], s[8:9]
	s_clause 0x7
	global_load_u8 v1, v0, s[4:5] offset:256
	global_load_u8 v2, v0, s[4:5] offset:1536
	;; [unrolled: 1-line block ×4, first 2 shown]
	global_load_u8 v15, v0, s[4:5]
	global_load_u8 v16, v0, s[4:5] offset:768
	global_load_u8 v17, v0, s[4:5] offset:1280
	;; [unrolled: 1-line block ×3, first 2 shown]
	s_cvt_f32_u32 s3, s2
	s_lshl_b64 s[4:5], s[10:11], 2
	s_sub_co_i32 s10, 0, s2
	s_add_nc_u64 s[4:5], s[6:7], s[4:5]
	v_rcp_iflag_f32_e32 v5, s3
	s_delay_alu instid0(TRANS32_DEP_1) | instskip(SKIP_3) | instid1(SALU_CYCLE_2)
	v_readfirstlane_b32 s3, v5
	v_lshlrev_b32_e32 v5, 3, v0
	s_mul_f32 s3, s3, 0x4f7ffffe
	s_wait_alu 0xfffe
	s_cvt_u32_f32 s3, s3
	s_wait_alu 0xfffe
	s_delay_alu instid0(SALU_CYCLE_2) | instskip(NEXT) | instid1(SALU_CYCLE_1)
	s_mul_i32 s10, s10, s3
	s_mul_hi_u32 s10, s3, s10
	s_delay_alu instid0(SALU_CYCLE_1)
	s_add_co_i32 s3, s3, s10
	s_wait_alu 0xfffe
	s_lshr_b32 s10, s3, 21
	s_load_b32 s3, s[4:5], 0x0
	s_mul_i32 s6, s10, s2
	s_mov_b32 s4, s0
	s_sub_co_i32 s5, 0x800, s6
	s_add_co_i32 s6, s10, 1
	s_sub_co_i32 s7, s5, s2
	s_cmp_ge_u32 s5, s2
	s_cselect_b32 s0, s6, s10
	s_cselect_b32 s5, s7, s5
	s_add_co_i32 s6, s0, 1
	s_cmp_ge_u32 s5, s2
	s_mov_b32 s5, s1
	s_cselect_b32 s0, s6, s0
	s_delay_alu instid0(SALU_CYCLE_1)
	s_add_co_i32 s1, s0, 1
	s_wait_loadcnt 0x3
	v_perm_b32 v1, v15, v1, 0xc0c0004
	s_wait_loadcnt 0x2
	v_perm_b32 v14, v14, v16, 0xc0c0004
	;; [unrolled: 2-line block ×4, first 2 shown]
	v_lshl_or_b32 v1, v14, 16, v1
	s_delay_alu instid0(VALU_DEP_2)
	v_lshl_or_b32 v2, v2, 16, v4
	v_mov_b32_e32 v4, v3
	v_or_b32_e32 v7, 7, v5
	v_or_b32_e32 v8, 6, v5
	;; [unrolled: 1-line block ×7, first 2 shown]
	s_branch .LBB165_2
.LBB165_1:                              ;   in Loop: Header=BB165_2 Depth=1
	s_wait_alu 0xfffe
	s_or_b32 exec_lo, exec_lo, s0
	v_lshrrev_b32_e32 v19, 16, v2
	v_lshrrev_b32_e32 v20, 16, v4
	;; [unrolled: 1-line block ×3, first 2 shown]
	s_wait_kmcnt 0x0
	v_cmp_gt_u32_e64 s0, s3, v5
	v_lshrrev_b32_e32 v21, 8, v2
	v_sub_nc_u16 v16, v14, v19
	v_and_b32_e32 v18, 0xff, v20
	v_perm_b32 v20, v20, v14, 0xc0c0004
	v_lshrrev_b32_e32 v23, 16, v3
	v_lshrrev_b32_e32 v25, 8, v3
	v_lshlrev_b16 v24, 8, v16
	v_lshrrev_b64 v[16:17], 24, v[3:4]
	v_perm_b32 v4, v4, v22, 0xc0c0004
	v_lshrrev_b32_e32 v26, 16, v1
	s_wait_dscnt 0x0
	s_wait_alu 0xf1ff
	v_cndmask_b32_e64 v15, 0, v15, s0
	v_or_b32_e32 v24, v18, v24
	v_lshrrev_b64 v[17:18], 24, v[1:2]
	v_lshl_or_b32 v20, v20, 16, v4
	v_cmp_gt_u32_e64 s0, s3, v7
	v_perm_b32 v3, v3, v25, 0xc0c0004
	v_lshlrev_b32_e32 v22, 16, v24
	v_perm_b32 v16, v23, v16, 0xc0c0004
	v_lshlrev_b16 v24, 8, v21
	v_lshrrev_b32_e32 v27, 8, v1
	v_and_b32_e32 v18, 0xff, v2
	v_or_b32_e32 v4, v4, v22
	v_sub_nc_u16 v22, v17, v26
	v_lshl_or_b32 v23, v16, 16, v3
	v_and_b32_e32 v16, 0xff, v16
	v_and_b32_e32 v3, 0xff, v3
	s_wait_alu 0xf1ff
	v_cndmask_b32_e64 v4, v20, v4, s0
	v_sub_nc_u16 v20, v21, v2
	v_lshlrev_b16 v22, 8, v22
	v_perm_b32 v29, v23, v17, 0xc0c0006
	v_cmp_gt_u32_e64 s0, s3, v11
	v_and_b32_e32 v25, 0xff, v4
	v_lshlrev_b16 v20, 8, v20
	v_or_b32_e32 v16, v16, v22
	v_and_b32_e32 v28, 0xff, v19
	s_add_co_i32 s2, s2, -1
	v_or_b32_e32 v22, v25, v24
	v_or_b32_e32 v20, v25, v20
	v_cndmask_b32_e64 v16, v29, v16, s0
	v_cmp_gt_u32_e64 s0, s3, v9
	v_sub_nc_u16 v25, v26, v27
	v_and_b32_e32 v22, 0xffff, v22
	v_and_b32_e32 v20, 0xffff, v20
	v_lshlrev_b32_e32 v16, 16, v16
	v_sub_nc_u16 v29, v27, v1
	v_sub_nc_u16 v24, v19, v21
	s_wait_loadcnt 0x0
	s_wait_alu 0xf1ff
	v_cndmask_b32_e64 v20, v22, v20, s0
	v_sub_nc_u16 v22, v2, v17
	v_and_or_b32 v16, 0xffff, v23, v16
	v_lshlrev_b16 v23, 8, v29
	v_cmp_gt_u32_e64 s0, s3, v12
	v_and_b32_e32 v20, 0xffffff00, v20
	v_and_b32_e32 v22, 0xff, v22
	v_perm_b32 v29, v26, v16, 0xc0c0304
	v_perm_b32 v25, v25, v16, 0xc0c0304
	v_and_b32_e32 v24, 0xff, v24
	v_or_b32_e32 v18, v18, v20
	v_or_b32_e32 v20, v22, v20
	v_lshrrev_b32_e32 v22, 16, v4
	s_wait_alu 0xf1ff
	v_cndmask_b32_e64 v25, v29, v25, s0
	v_cmp_gt_u32_e64 s0, s3, v10
	v_and_b32_e32 v18, 0xffff, v18
	v_and_b32_e32 v20, 0xffff, v20
	v_or_b32_e32 v3, v3, v23
	v_and_b32_e32 v22, 0xffffff00, v22
	v_lshlrev_b32_e32 v23, 16, v25
	s_barrier_signal -1
	s_wait_alu 0xf1ff
	v_cndmask_b32_e64 v18, v18, v20, s0
	v_sub_nc_u16 v20, v1, v15
	v_or_b32_e32 v15, v24, v22
	v_and_or_b32 v16, 0xffff, v16, v23
	v_or_b32_e32 v22, v28, v22
	v_lshrrev_b16 v23, 8, v18
	v_cmp_gt_u32_e64 s0, s3, v8
	v_add_nc_u16 v2, v18, v2
	v_and_b32_e32 v3, 0xffff, v3
	v_perm_b32 v28, v16, v27, 0xc0c0004
	v_add_nc_u16 v21, v23, v21
	s_wait_alu 0xf1ff
	v_cndmask_b32_e64 v22, v22, v15, s0
	v_cmp_gt_u32_e64 s0, s3, v13
	v_and_b32_e32 v2, 0xff, v2
	v_lshrrev_b32_e32 v24, 8, v25
	v_lshlrev_b16 v15, 8, v21
	v_bfe_u32 v23, v22, 8, 8
	s_wait_alu 0xf1ff
	v_cndmask_b32_e64 v3, v28, v3, s0
	v_add_nc_u16 v21, v25, v26
	v_add_nc_u16 v17, v24, v17
	v_or_b32_e32 v2, v2, v15
	v_add_nc_u16 v15, v22, v19
	v_add_nc_u16 v19, v23, v14
	v_lshrrev_b32_e32 v24, 8, v3
	v_add_nc_u16 v1, v20, v1
	v_and_b32_e32 v14, 0xffff, v2
	v_and_b32_e32 v15, 0xff, v15
	v_lshlrev_b16 v19, 8, v19
	v_add_nc_u16 v23, v24, v27
	v_lshlrev_b16 v17, 8, v17
	v_lshrrev_b32_e32 v24, 8, v14
	v_and_b32_e32 v21, 0xff, v21
	v_or_b32_e32 v15, v15, v19
	v_lshrrev_b32_e32 v19, 8, v19
	v_lshlrev_b16 v23, 8, v23
	v_and_b32_e32 v1, 0xff, v1
	v_and_b32_e32 v2, 0xff, v2
	v_lshlrev_b16 v24, 8, v24
	v_and_b32_e32 v25, 0xff, v15
	v_lshlrev_b16 v19, 8, v19
	v_lshlrev_b32_e32 v22, 16, v22
	v_or_b32_e32 v17, v21, v17
	v_or_b32_e32 v1, v1, v23
	;; [unrolled: 1-line block ×4, first 2 shown]
	v_and_or_b32 v4, 0xffff, v4, v22
	v_lshlrev_b32_e32 v17, 16, v17
	v_and_b32_e32 v1, 0xffff, v1
	v_and_b32_e32 v2, 0xffff, v2
	v_lshlrev_b32_e32 v19, 16, v19
	v_and_or_b32 v3, 0xffff0000, v16, v3
	v_and_or_b32 v4, 0xffff0000, v4, v18
	v_or_b32_e32 v1, v1, v17
	s_add_co_i32 s0, s1, s3
	v_or_b32_e32 v2, v2, v19
	v_perm_b32 v3, v20, v3, 0x3020104
	s_wait_alu 0xfffe
	s_and_b32 s3, s0, 0x7ff
	s_cmp_lg_u32 s2, 0
	s_barrier_wait -1
	global_inv scope:SCOPE_SE
	s_cbranch_scc0 .LBB165_4
.LBB165_2:                              ; =>This Inner Loop Header: Depth=1
	v_lshrrev_b32_e32 v14, 24, v2
	v_mov_b32_e32 v15, 0x7b
	ds_store_b8 v0, v14
	s_wait_dscnt 0x0
	s_barrier_signal -1
	s_barrier_wait -1
	global_inv scope:SCOPE_SE
	s_and_saveexec_b32 s0, vcc_lo
	s_cbranch_execz .LBB165_1
; %bb.3:                                ;   in Loop: Header=BB165_2 Depth=1
	ds_load_u8 v15, v6
	s_branch .LBB165_1
.LBB165_4:
	v_lshlrev_b32_e32 v2, 16, v15
	s_add_nc_u64 s[0:1], s[4:5], s[8:9]
	v_lshrrev_b32_e32 v5, 24, v1
	s_delay_alu instid0(VALU_DEP_2)
	v_or_b32_e32 v4, v14, v2
	s_wait_alu 0xfffe
	v_add_co_u32 v2, s0, s0, v0
	s_wait_alu 0xf1ff
	v_add_co_ci_u32_e64 v3, null, s1, 0, s0
	v_lshrrev_b32_e32 v0, 8, v1
	v_lshrrev_b32_e32 v6, 8, v4
	;; [unrolled: 1-line block ×3, first 2 shown]
	s_clause 0x7
	global_store_b8 v[2:3], v1, off
	global_store_b8 v[2:3], v0, off offset:256
	global_store_d16_hi_b8 v[2:3], v1, off offset:512
	global_store_b8 v[2:3], v5, off offset:768
	global_store_b8 v[2:3], v4, off offset:1024
	global_store_b8 v[2:3], v6, off offset:1280
	global_store_d16_hi_b8 v[2:3], v4, off offset:1536
	global_store_b8 v[2:3], v7, off offset:1792
	s_endpgm
	.section	.rodata,"a",@progbits
	.p2align	6, 0x0
	.amdhsa_kernel _Z6kernelI26subtract_left_partial_tileLj256ELj8ELb1EJPaPiS1_jEEvDpT3_
		.amdhsa_group_segment_fixed_size 512
		.amdhsa_private_segment_fixed_size 0
		.amdhsa_kernarg_size 28
		.amdhsa_user_sgpr_count 2
		.amdhsa_user_sgpr_dispatch_ptr 0
		.amdhsa_user_sgpr_queue_ptr 0
		.amdhsa_user_sgpr_kernarg_segment_ptr 1
		.amdhsa_user_sgpr_dispatch_id 0
		.amdhsa_user_sgpr_private_segment_size 0
		.amdhsa_wavefront_size32 1
		.amdhsa_uses_dynamic_stack 0
		.amdhsa_enable_private_segment 0
		.amdhsa_system_sgpr_workgroup_id_x 1
		.amdhsa_system_sgpr_workgroup_id_y 0
		.amdhsa_system_sgpr_workgroup_id_z 0
		.amdhsa_system_sgpr_workgroup_info 0
		.amdhsa_system_vgpr_workitem_id 0
		.amdhsa_next_free_vgpr 30
		.amdhsa_next_free_sgpr 12
		.amdhsa_reserve_vcc 1
		.amdhsa_float_round_mode_32 0
		.amdhsa_float_round_mode_16_64 0
		.amdhsa_float_denorm_mode_32 3
		.amdhsa_float_denorm_mode_16_64 3
		.amdhsa_fp16_overflow 0
		.amdhsa_workgroup_processor_mode 1
		.amdhsa_memory_ordered 1
		.amdhsa_forward_progress 1
		.amdhsa_inst_pref_size 13
		.amdhsa_round_robin_scheduling 0
		.amdhsa_exception_fp_ieee_invalid_op 0
		.amdhsa_exception_fp_denorm_src 0
		.amdhsa_exception_fp_ieee_div_zero 0
		.amdhsa_exception_fp_ieee_overflow 0
		.amdhsa_exception_fp_ieee_underflow 0
		.amdhsa_exception_fp_ieee_inexact 0
		.amdhsa_exception_int_div_zero 0
	.end_amdhsa_kernel
	.section	.text._Z6kernelI26subtract_left_partial_tileLj256ELj8ELb1EJPaPiS1_jEEvDpT3_,"axG",@progbits,_Z6kernelI26subtract_left_partial_tileLj256ELj8ELb1EJPaPiS1_jEEvDpT3_,comdat
.Lfunc_end165:
	.size	_Z6kernelI26subtract_left_partial_tileLj256ELj8ELb1EJPaPiS1_jEEvDpT3_, .Lfunc_end165-_Z6kernelI26subtract_left_partial_tileLj256ELj8ELb1EJPaPiS1_jEEvDpT3_
                                        ; -- End function
	.set _Z6kernelI26subtract_left_partial_tileLj256ELj8ELb1EJPaPiS1_jEEvDpT3_.num_vgpr, 30
	.set _Z6kernelI26subtract_left_partial_tileLj256ELj8ELb1EJPaPiS1_jEEvDpT3_.num_agpr, 0
	.set _Z6kernelI26subtract_left_partial_tileLj256ELj8ELb1EJPaPiS1_jEEvDpT3_.numbered_sgpr, 12
	.set _Z6kernelI26subtract_left_partial_tileLj256ELj8ELb1EJPaPiS1_jEEvDpT3_.num_named_barrier, 0
	.set _Z6kernelI26subtract_left_partial_tileLj256ELj8ELb1EJPaPiS1_jEEvDpT3_.private_seg_size, 0
	.set _Z6kernelI26subtract_left_partial_tileLj256ELj8ELb1EJPaPiS1_jEEvDpT3_.uses_vcc, 1
	.set _Z6kernelI26subtract_left_partial_tileLj256ELj8ELb1EJPaPiS1_jEEvDpT3_.uses_flat_scratch, 0
	.set _Z6kernelI26subtract_left_partial_tileLj256ELj8ELb1EJPaPiS1_jEEvDpT3_.has_dyn_sized_stack, 0
	.set _Z6kernelI26subtract_left_partial_tileLj256ELj8ELb1EJPaPiS1_jEEvDpT3_.has_recursion, 0
	.set _Z6kernelI26subtract_left_partial_tileLj256ELj8ELb1EJPaPiS1_jEEvDpT3_.has_indirect_call, 0
	.section	.AMDGPU.csdata,"",@progbits
; Kernel info:
; codeLenInByte = 1640
; TotalNumSgprs: 14
; NumVgprs: 30
; ScratchSize: 0
; MemoryBound: 0
; FloatMode: 240
; IeeeMode: 1
; LDSByteSize: 512 bytes/workgroup (compile time only)
; SGPRBlocks: 0
; VGPRBlocks: 3
; NumSGPRsForWavesPerEU: 14
; NumVGPRsForWavesPerEU: 30
; Occupancy: 16
; WaveLimiterHint : 1
; COMPUTE_PGM_RSRC2:SCRATCH_EN: 0
; COMPUTE_PGM_RSRC2:USER_SGPR: 2
; COMPUTE_PGM_RSRC2:TRAP_HANDLER: 0
; COMPUTE_PGM_RSRC2:TGID_X_EN: 1
; COMPUTE_PGM_RSRC2:TGID_Y_EN: 0
; COMPUTE_PGM_RSRC2:TGID_Z_EN: 0
; COMPUTE_PGM_RSRC2:TIDIG_COMP_CNT: 0
	.section	.text._Z6kernelI26subtract_left_partial_tileLj256ELj16ELb1EJPaPiS1_jEEvDpT3_,"axG",@progbits,_Z6kernelI26subtract_left_partial_tileLj256ELj16ELb1EJPaPiS1_jEEvDpT3_,comdat
	.protected	_Z6kernelI26subtract_left_partial_tileLj256ELj16ELb1EJPaPiS1_jEEvDpT3_ ; -- Begin function _Z6kernelI26subtract_left_partial_tileLj256ELj16ELb1EJPaPiS1_jEEvDpT3_
	.globl	_Z6kernelI26subtract_left_partial_tileLj256ELj16ELb1EJPaPiS1_jEEvDpT3_
	.p2align	8
	.type	_Z6kernelI26subtract_left_partial_tileLj256ELj16ELb1EJPaPiS1_jEEvDpT3_,@function
_Z6kernelI26subtract_left_partial_tileLj256ELj16ELb1EJPaPiS1_jEEvDpT3_: ; @_Z6kernelI26subtract_left_partial_tileLj256ELj16ELb1EJPaPiS1_jEEvDpT3_
; %bb.0:
	s_load_b128 s[4:7], s[0:1], 0x0
	s_lshl_b32 s8, ttmp9, 12
	s_mov_b32 s9, 0
	s_load_b96 s[0:2], s[0:1], 0x10
	s_mov_b32 s10, ttmp9
	s_mov_b32 s11, s9
	v_dual_mov_b32 v7, 0 :: v_dual_add_nc_u32 v10, -1, v0
	s_lshl_b64 s[10:11], s[10:11], 2
	v_lshlrev_b32_e32 v9, 4, v0
	v_cmp_ne_u32_e32 vcc_lo, 0, v0
	s_delay_alu instid0(VALU_DEP_3) | instskip(NEXT) | instid1(VALU_DEP_3)
	v_dual_mov_b32 v8, v7 :: v_dual_mov_b32 v5, v7
	v_or_b32_e32 v11, 15, v9
	v_or_b32_e32 v12, 14, v9
	;; [unrolled: 1-line block ×6, first 2 shown]
	s_wait_kmcnt 0x0
	s_add_nc_u64 s[4:5], s[4:5], s[8:9]
	s_add_nc_u64 s[6:7], s[6:7], s[10:11]
	s_clause 0xf
	global_load_u8 v1, v0, s[4:5] offset:256
	global_load_u8 v2, v0, s[4:5] offset:768
	;; [unrolled: 1-line block ×7, first 2 shown]
	global_load_u8 v28, v0, s[4:5]
	global_load_u8 v29, v0, s[4:5] offset:2304
	global_load_u8 v30, v0, s[4:5] offset:3584
	;; [unrolled: 1-line block ×8, first 2 shown]
	s_cvt_f32_u32 s3, s2
	s_sub_co_i32 s4, 0, s2
	v_or_b32_e32 v18, 8, v9
	v_or_b32_e32 v19, 7, v9
	v_rcp_iflag_f32_e32 v14, s3
	v_or_b32_e32 v20, 6, v9
	v_or_b32_e32 v21, 5, v9
	;; [unrolled: 1-line block ×6, first 2 shown]
	s_delay_alu instid0(TRANS32_DEP_1) | instskip(SKIP_3) | instid1(SALU_CYCLE_2)
	v_readfirstlane_b32 s3, v14
	v_or_b32_e32 v14, 12, v9
	s_mul_f32 s3, s3, 0x4f7ffffe
	s_wait_alu 0xfffe
	s_cvt_u32_f32 s3, s3
	s_wait_alu 0xfffe
	s_delay_alu instid0(SALU_CYCLE_2) | instskip(NEXT) | instid1(SALU_CYCLE_1)
	s_mul_i32 s4, s4, s3
	s_mul_hi_u32 s4, s3, s4
	s_delay_alu instid0(SALU_CYCLE_1)
	s_add_co_i32 s3, s3, s4
	s_mov_b32 s4, s0
	s_wait_alu 0xfffe
	s_lshr_b32 s5, s3, 20
	s_load_b32 s3, s[6:7], 0x0
	s_mul_i32 s0, s5, s2
	s_add_co_i32 s10, s5, 1
	s_sub_co_i32 s0, 0x1000, s0
	s_delay_alu instid0(SALU_CYCLE_1)
	s_sub_co_i32 s11, s0, s2
	s_cmp_ge_u32 s0, s2
	s_cselect_b32 s5, s10, s5
	s_cselect_b32 s0, s11, s0
	s_add_co_i32 s6, s5, 1
	s_cmp_ge_u32 s0, s2
	s_cselect_b32 s0, s6, s5
	s_mov_b32 s5, s1
	s_add_co_i32 s1, s0, 1
	s_wait_loadcnt 0xb
	v_perm_b32 v4, v6, v4, 0xc0c0004
	s_wait_loadcnt 0xa
	v_perm_b32 v3, v26, v3, 0xc0c0004
	;; [unrolled: 2-line block ×8, first 2 shown]
	v_lshl_or_b32 v1, v2, 16, v1
	v_lshl_or_b32 v2, v4, 16, v3
	;; [unrolled: 1-line block ×3, first 2 shown]
	v_mov_b32_e32 v6, v7
	v_lshl_or_b32 v4, v28, 16, v27
	s_branch .LBB166_2
.LBB166_1:                              ;   in Loop: Header=BB166_2 Depth=1
	s_wait_alu 0xfffe
	s_or_b32 exec_lo, exec_lo, s0
	v_lshrrev_b32_e32 v33, 16, v2
	v_lshrrev_b32_e32 v39, 24, v2
	;; [unrolled: 1-line block ×3, first 2 shown]
	v_lshrrev_b64 v[28:29], 24, v[5:6]
	v_lshrrev_b64 v[29:30], 24, v[7:8]
	v_lshrrev_b32_e32 v35, 16, v4
	v_sub_nc_u16 v44, v39, v33
	v_and_b32_e32 v30, 0xff, v36
	v_lshrrev_b32_e32 v31, 8, v8
	v_lshrrev_b32_e32 v38, 16, v6
	v_sub_nc_u16 v48, v26, v35
	v_lshlrev_b16 v44, 8, v44
	v_perm_b32 v36, v36, v39, 0xc0c0004
	v_perm_b32 v8, v8, v31, 0xc0c0004
	v_lshrrev_b32_e32 v37, 8, v6
	v_lshlrev_b16 v48, 8, v48
	v_or_b32_e32 v30, v30, v44
	v_and_b32_e32 v44, 0xff, v38
	v_lshrrev_b32_e32 v40, 16, v5
	v_lshrrev_b32_e32 v41, 8, v5
	;; [unrolled: 1-line block ×3, first 2 shown]
	v_lshlrev_b32_e32 v50, 16, v30
	v_lshrrev_b64 v[30:31], 24, v[3:4]
	v_or_b32_e32 v44, v44, v48
	v_lshl_or_b32 v36, v36, 16, v8
	s_wait_kmcnt 0x0
	v_cmp_gt_u32_e64 s0, s3, v19
	v_or_b32_e32 v8, v8, v50
	v_perm_b32 v6, v6, v37, 0xc0c0004
	v_perm_b32 v37, v38, v26, 0xc0c0004
	v_lshlrev_b32_e32 v38, 16, v44
	v_perm_b32 v5, v5, v41, 0xc0c0004
	v_perm_b32 v28, v40, v28, 0xc0c0004
	s_wait_alu 0xf1ff
	v_cndmask_b32_e64 v36, v36, v8, s0
	v_sub_nc_u16 v8, v30, v45
	v_lshl_or_b32 v37, v37, 16, v6
	v_or_b32_e32 v6, v6, v38
	v_lshl_or_b32 v38, v28, 16, v5
	v_and_b32_e32 v28, 0xff, v28
	v_lshlrev_b16 v8, 8, v8
	v_cmp_gt_u32_e64 s0, s3, v11
	v_lshrrev_b32_e32 v32, 8, v2
	v_perm_b32 v40, v38, v30, 0xc0c0006
	v_lshrrev_b32_e32 v43, 8, v7
	v_or_b32_e32 v8, v28, v8
	s_wait_alu 0xf1ff
	v_cndmask_b32_e64 v6, v37, v6, s0
	v_cmp_gt_u32_e64 s0, s3, v15
	v_lshrrev_b32_e32 v34, 8, v4
	v_lshlrev_b16 v31, 8, v32
	v_and_b32_e32 v37, 0xff, v36
	v_lshrrev_b32_e32 v42, 16, v7
	s_wait_alu 0xf1ff
	v_cndmask_b32_e64 v40, v40, v8, s0
	v_perm_b32 v43, v7, v43, 0xc0c0004
	v_lshrrev_b64 v[7:8], 24, v[1:2]
	v_lshrrev_b32_e32 v46, 8, v3
	v_or_b32_e32 v8, v37, v31
	v_lshlrev_b32_e32 v31, 16, v40
	v_sub_nc_u16 v48, v34, v4
	v_lshlrev_b16 v28, 8, v34
	v_and_b32_e32 v41, 0xff, v6
	v_lshrrev_b32_e32 v44, 16, v6
	v_and_or_b32 v31, 0xffff, v38, v31
	v_sub_nc_u16 v38, v45, v46
	v_sub_nc_u16 v50, v35, v34
	v_lshlrev_b16 v48, 8, v48
	v_or_b32_e32 v28, v41, v28
	v_and_b32_e32 v44, 0xffffff00, v44
	v_perm_b32 v51, v45, v31, 0xc0c0304
	v_perm_b32 v38, v38, v31, 0xc0c0304
	v_and_b32_e32 v50, 0xff, v50
	v_or_b32_e32 v41, v41, v48
	v_cmp_gt_u32_e64 s0, s3, v16
	v_and_b32_e32 v52, 0xff, v35
	v_and_b32_e32 v28, 0xffff, v28
	v_or_b32_e32 v48, v50, v44
	v_sub_nc_u16 v50, v46, v3
	s_wait_alu 0xf1ff
	v_cndmask_b32_e64 v38, v51, v38, s0
	v_and_b32_e32 v41, 0xffff, v41
	v_cmp_gt_u32_e64 s0, s3, v13
	v_and_b32_e32 v5, 0xff, v5
	v_lshlrev_b16 v50, 8, v50
	v_lshlrev_b32_e32 v51, 16, v38
	v_or_b32_e32 v44, v52, v44
	s_wait_alu 0xf1ff
	v_cndmask_b32_e64 v28, v28, v41, s0
	v_cmp_gt_u32_e64 s0, s3, v12
	v_or_b32_e32 v5, v5, v50
	v_and_or_b32 v31, 0xffff, v31, v51
	v_perm_b32 v29, v42, v29, 0xc0c0004
	v_and_b32_e32 v42, 0xff, v4
	s_wait_alu 0xf1ff
	v_cndmask_b32_e64 v41, v44, v48, s0
	v_sub_nc_u16 v44, v4, v30
	v_perm_b32 v48, v31, v46, 0xc0c0004
	v_and_b32_e32 v5, 0xffff, v5
	v_and_b32_e32 v28, 0xffffff00, v28
	v_cmp_gt_u32_e64 s0, s3, v17
	v_and_b32_e32 v44, 0xff, v44
	v_lshrrev_b32_e32 v47, 16, v1
	v_lshlrev_b32_e32 v50, 16, v41
	v_or_b32_e32 v42, v42, v28
	s_wait_alu 0xf1ff
	v_cndmask_b32_e64 v5, v48, v5, s0
	v_or_b32_e32 v28, v44, v28
	v_sub_nc_u16 v44, v3, v39
	v_cmp_gt_u32_e64 s0, s3, v14
	v_lshl_or_b32 v40, v29, 16, v43
	v_and_or_b32 v5, 0xffff0000, v31, v5
	v_and_b32_e32 v31, 0xffff, v42
	v_sub_nc_u16 v42, v7, v47
	v_and_b32_e32 v28, 0xffff, v28
	v_and_or_b32 v6, 0xffff, v6, v50
	v_perm_b32 v50, v3, v5, 0xc0c0104
	v_and_b32_e32 v29, 0xff, v29
	v_lshlrev_b16 v42, 8, v42
	v_perm_b32 v44, v44, v5, 0xc0c0104
	s_wait_alu 0xf1ff
	v_cndmask_b32_e64 v28, v31, v28, s0
	v_cmp_gt_u32_e64 s0, s3, v18
	v_perm_b32 v31, v40, v7, 0xc0c0006
	v_or_b32_e32 v29, v29, v42
	v_lshrrev_b32_e32 v49, 8, v1
	v_lshrrev_b32_e32 v52, 16, v36
	s_wait_alu 0xf1ff
	v_cndmask_b32_e64 v42, v50, v44, s0
	v_cmp_gt_u32_e64 s0, s3, v23
	v_sub_nc_u16 v53, v33, v32
	v_sub_nc_u16 v54, v32, v2
	v_and_b32_e32 v44, 0xff, v33
	v_and_b32_e32 v52, 0xffffff00, v52
	s_wait_alu 0xf1ff
	v_cndmask_b32_e64 v29, v31, v29, s0
	v_and_b32_e32 v53, 0xff, v53
	v_lshlrev_b16 v54, 8, v54
	v_cmp_gt_u32_e64 s0, s3, v24
	v_or_b32_e32 v44, v44, v52
	v_lshlrev_b32_e32 v29, 16, v29
	v_or_b32_e32 v53, v53, v52
	v_or_b32_e32 v37, v37, v54
	v_sub_nc_u16 v52, v49, v1
	v_and_b32_e32 v8, 0xffff, v8
	v_and_or_b32 v29, 0xffff, v40, v29
	v_sub_nc_u16 v40, v47, v49
	v_and_b32_e32 v37, 0xffff, v37
	v_and_b32_e32 v43, 0xff, v43
	v_lshlrev_b16 v52, 8, v52
	v_perm_b32 v55, v47, v29, 0xc0c0304
	v_perm_b32 v40, v40, v29, 0xc0c0304
	v_and_b32_e32 v48, 0xff, v2
	v_lshrrev_b16 v50, 8, v28
	v_and_or_b32 v6, 0xffff0000, v6, v28
	v_lshrrev_b16 v31, 8, v42
	s_wait_alu 0xf1ff
	v_cndmask_b32_e64 v40, v55, v40, s0
	v_cmp_gt_u32_e64 s0, s3, v20
	v_add_nc_u16 v4, v28, v4
	v_add_nc_u16 v28, v50, v34
	v_lshrrev_b32_e32 v56, 8, v38
	v_lshlrev_b32_e32 v54, 16, v40
	s_wait_alu 0xf1ff
	v_cndmask_b32_e64 v44, v44, v53, s0
	v_cmp_gt_u32_e64 s0, s3, v21
	v_add_nc_u16 v3, v42, v3
	v_and_b32_e32 v4, 0xff, v4
	v_and_or_b32 v29, 0xffff, v29, v54
	v_lshlrev_b16 v28, 8, v28
	s_wait_alu 0xf1ff
	v_cndmask_b32_e64 v8, v8, v37, s0
	v_or_b32_e32 v37, v43, v52
	v_lshlrev_b32_e32 v43, 16, v44
	v_sub_nc_u16 v52, v2, v7
	v_perm_b32 v53, v29, v49, 0xc0c0004
	v_cmp_gt_u32_e64 s0, s3, v25
	v_and_b32_e32 v37, 0xffff, v37
	v_and_b32_e32 v8, 0xffffff00, v8
	v_and_or_b32 v36, 0xffff, v36, v43
	v_and_b32_e32 v43, 0xff, v52
	v_bfe_u32 v51, v41, 8, 8
	s_wait_alu 0xf1ff
	v_cndmask_b32_e64 v37, v53, v37, s0
	v_cmp_gt_u32_e64 s0, s3, v9
	v_or_b32_e32 v48, v48, v8
	v_or_b32_e32 v8, v43, v8
	v_lshrrev_b32_e32 v43, 8, v40
	v_lshrrev_b32_e32 v52, 8, v37
	s_wait_dscnt 0x0
	s_wait_alu 0xf1ff
	v_cndmask_b32_e64 v27, 0, v27, s0
	v_and_b32_e32 v48, 0xffff, v48
	v_and_b32_e32 v8, 0xffff, v8
	v_add_nc_u16 v7, v43, v7
	v_cmp_gt_u32_e64 s0, s3, v22
	v_sub_nc_u16 v53, v1, v27
	v_add_nc_u16 v27, v40, v47
	v_and_b32_e32 v3, 0xff, v3
	v_lshlrev_b16 v7, 8, v7
	s_wait_alu 0xf1ff
	v_cndmask_b32_e64 v43, v48, v8, s0
	v_add_nc_u16 v30, v56, v30
	v_and_b32_e32 v27, 0xff, v27
	v_or_b32_e32 v4, v4, v28
	v_add_nc_u16 v35, v41, v35
	v_add_nc_u16 v2, v43, v2
	v_and_or_b32 v8, 0xffff0000, v36, v43
	v_or_b32_e32 v7, v27, v7
	v_lshrrev_b16 v27, 8, v43
	v_and_or_b32 v36, 0xffff0000, v29, v37
	v_and_b32_e32 v2, 0xff, v2
	v_add_nc_u16 v29, v31, v46
	v_bfe_u32 v37, v44, 8, 8
	v_add_nc_u16 v27, v27, v32
	v_add_nc_u16 v32, v44, v33
	v_lshlrev_b16 v33, 8, v30
	v_lshlrev_b16 v29, 8, v29
	v_add_nc_u16 v30, v37, v39
	v_lshlrev_b16 v27, 8, v27
	v_add_nc_u16 v26, v51, v26
	v_add_nc_u16 v40, v52, v49
	v_or_b32_e32 v3, v3, v29
	v_add_nc_u16 v29, v38, v45
	v_or_b32_e32 v2, v2, v27
	v_add_nc_u16 v1, v53, v1
	v_and_b32_e32 v32, 0xff, v32
	v_and_b32_e32 v27, 0xffff, v3
	;; [unrolled: 1-line block ×5, first 2 shown]
	v_lshlrev_b16 v37, 8, v30
	v_and_b32_e32 v2, 0xff, v2
	v_lshlrev_b16 v40, 8, v40
	v_lshrrev_b32_e32 v34, 8, v28
	v_and_b32_e32 v1, 0xff, v1
	v_lshrrev_b32_e32 v38, 8, v29
	v_and_b32_e32 v3, 0xff, v3
	v_and_b32_e32 v4, 0xff, v4
	v_lshlrev_b16 v30, 8, v34
	v_and_b32_e32 v34, 0xff, v35
	v_lshlrev_b16 v35, 8, v26
	v_or_b32_e32 v26, v31, v33
	v_or_b32_e32 v31, v32, v37
	;; [unrolled: 1-line block ×3, first 2 shown]
	v_lshrrev_b32_e32 v33, 8, v33
	v_or_b32_e32 v30, v34, v35
	v_lshrrev_b32_e32 v32, 8, v35
	v_lshrrev_b32_e32 v34, 8, v37
	;; [unrolled: 1-line block ×3, first 2 shown]
	v_or_b32_e32 v1, v1, v40
	v_and_b32_e32 v37, 0xff, v31
	v_and_b32_e32 v39, 0xff, v26
	v_lshlrev_b16 v34, 8, v34
	v_lshlrev_b16 v35, 8, v35
	;; [unrolled: 1-line block ×4, first 2 shown]
	v_and_b32_e32 v40, 0xff, v30
	v_lshlrev_b16 v32, 8, v32
	v_or_b32_e32 v34, v37, v34
	v_or_b32_e32 v3, v3, v35
	;; [unrolled: 1-line block ×5, first 2 shown]
	v_lshlrev_b32_e32 v7, 16, v7
	v_and_b32_e32 v1, 0xffff, v1
	v_and_b32_e32 v2, 0xffff, v2
	v_lshlrev_b32_e32 v34, 16, v34
	v_and_b32_e32 v3, 0xffff, v3
	v_lshlrev_b32_e32 v33, 16, v33
	;; [unrolled: 2-line block ×3, first 2 shown]
	v_and_or_b32 v5, 0xffff0000, v5, v42
	v_or_b32_e32 v1, v1, v7
	v_or_b32_e32 v2, v2, v34
	;; [unrolled: 1-line block ×3, first 2 shown]
	s_add_co_i32 s0, s1, s3
	v_or_b32_e32 v4, v4, v32
	v_perm_b32 v7, v53, v36, 0x3020104
	s_add_co_i32 s2, s2, -1
	s_wait_alu 0xfffe
	s_and_b32 s3, s0, 0xfff
	s_cmp_lg_u32 s2, 0
	s_wait_loadcnt 0x0
	s_barrier_signal -1
	s_barrier_wait -1
	global_inv scope:SCOPE_SE
	s_cbranch_scc0 .LBB166_4
.LBB166_2:                              ; =>This Inner Loop Header: Depth=1
	s_delay_alu instid0(VALU_DEP_1)
	v_lshrrev_b32_e32 v26, 24, v4
	v_mov_b32_e32 v27, 0x7b
	ds_store_b8 v0, v26
	s_wait_dscnt 0x0
	s_barrier_signal -1
	s_barrier_wait -1
	global_inv scope:SCOPE_SE
	s_and_saveexec_b32 s0, vcc_lo
	s_cbranch_execz .LBB166_1
; %bb.3:                                ;   in Loop: Header=BB166_2 Depth=1
	ds_load_u8 v27, v10
	s_branch .LBB166_1
.LBB166_4:
	v_lshlrev_b32_e32 v2, 16, v26
	v_lshlrev_b32_e32 v3, 16, v31
	s_add_nc_u64 s[0:1], s[4:5], s[8:9]
	v_lshlrev_b32_e32 v4, 16, v30
	v_lshrrev_b32_e32 v7, 24, v1
	v_or_b32_e32 v5, v27, v2
	s_wait_alu 0xfffe
	v_add_co_u32 v2, s0, s0, v0
	v_or_b32_e32 v6, v28, v3
	s_wait_alu 0xf1ff
	v_add_co_ci_u32_e64 v3, null, s1, 0, s0
	v_lshrrev_b32_e32 v0, 8, v1
	v_or_b32_e32 v4, v29, v4
	v_lshrrev_b32_e32 v8, 8, v6
	v_lshrrev_b32_e32 v9, 24, v6
	s_clause 0x7
	global_store_b8 v[2:3], v1, off
	global_store_b8 v[2:3], v0, off offset:256
	global_store_d16_hi_b8 v[2:3], v1, off offset:512
	global_store_b8 v[2:3], v7, off offset:768
	global_store_b8 v[2:3], v6, off offset:1024
	;; [unrolled: 1-line block ×3, first 2 shown]
	global_store_d16_hi_b8 v[2:3], v6, off offset:1536
	global_store_b8 v[2:3], v9, off offset:1792
	v_lshrrev_b32_e32 v0, 8, v5
	v_lshrrev_b32_e32 v1, 24, v5
	v_lshrrev_b32_e32 v6, 8, v4
	v_lshrrev_b32_e32 v7, 24, v4
	s_clause 0x7
	global_store_b8 v[2:3], v5, off offset:2048
	global_store_b8 v[2:3], v0, off offset:2304
	global_store_d16_hi_b8 v[2:3], v5, off offset:2560
	global_store_b8 v[2:3], v1, off offset:2816
	global_store_b8 v[2:3], v4, off offset:3072
	;; [unrolled: 1-line block ×3, first 2 shown]
	global_store_d16_hi_b8 v[2:3], v4, off offset:3584
	global_store_b8 v[2:3], v7, off offset:3840
	s_endpgm
	.section	.rodata,"a",@progbits
	.p2align	6, 0x0
	.amdhsa_kernel _Z6kernelI26subtract_left_partial_tileLj256ELj16ELb1EJPaPiS1_jEEvDpT3_
		.amdhsa_group_segment_fixed_size 512
		.amdhsa_private_segment_fixed_size 0
		.amdhsa_kernarg_size 28
		.amdhsa_user_sgpr_count 2
		.amdhsa_user_sgpr_dispatch_ptr 0
		.amdhsa_user_sgpr_queue_ptr 0
		.amdhsa_user_sgpr_kernarg_segment_ptr 1
		.amdhsa_user_sgpr_dispatch_id 0
		.amdhsa_user_sgpr_private_segment_size 0
		.amdhsa_wavefront_size32 1
		.amdhsa_uses_dynamic_stack 0
		.amdhsa_enable_private_segment 0
		.amdhsa_system_sgpr_workgroup_id_x 1
		.amdhsa_system_sgpr_workgroup_id_y 0
		.amdhsa_system_sgpr_workgroup_id_z 0
		.amdhsa_system_sgpr_workgroup_info 0
		.amdhsa_system_vgpr_workitem_id 0
		.amdhsa_next_free_vgpr 57
		.amdhsa_next_free_sgpr 12
		.amdhsa_reserve_vcc 1
		.amdhsa_float_round_mode_32 0
		.amdhsa_float_round_mode_16_64 0
		.amdhsa_float_denorm_mode_32 3
		.amdhsa_float_denorm_mode_16_64 3
		.amdhsa_fp16_overflow 0
		.amdhsa_workgroup_processor_mode 1
		.amdhsa_memory_ordered 1
		.amdhsa_forward_progress 1
		.amdhsa_inst_pref_size 24
		.amdhsa_round_robin_scheduling 0
		.amdhsa_exception_fp_ieee_invalid_op 0
		.amdhsa_exception_fp_denorm_src 0
		.amdhsa_exception_fp_ieee_div_zero 0
		.amdhsa_exception_fp_ieee_overflow 0
		.amdhsa_exception_fp_ieee_underflow 0
		.amdhsa_exception_fp_ieee_inexact 0
		.amdhsa_exception_int_div_zero 0
	.end_amdhsa_kernel
	.section	.text._Z6kernelI26subtract_left_partial_tileLj256ELj16ELb1EJPaPiS1_jEEvDpT3_,"axG",@progbits,_Z6kernelI26subtract_left_partial_tileLj256ELj16ELb1EJPaPiS1_jEEvDpT3_,comdat
.Lfunc_end166:
	.size	_Z6kernelI26subtract_left_partial_tileLj256ELj16ELb1EJPaPiS1_jEEvDpT3_, .Lfunc_end166-_Z6kernelI26subtract_left_partial_tileLj256ELj16ELb1EJPaPiS1_jEEvDpT3_
                                        ; -- End function
	.set _Z6kernelI26subtract_left_partial_tileLj256ELj16ELb1EJPaPiS1_jEEvDpT3_.num_vgpr, 57
	.set _Z6kernelI26subtract_left_partial_tileLj256ELj16ELb1EJPaPiS1_jEEvDpT3_.num_agpr, 0
	.set _Z6kernelI26subtract_left_partial_tileLj256ELj16ELb1EJPaPiS1_jEEvDpT3_.numbered_sgpr, 12
	.set _Z6kernelI26subtract_left_partial_tileLj256ELj16ELb1EJPaPiS1_jEEvDpT3_.num_named_barrier, 0
	.set _Z6kernelI26subtract_left_partial_tileLj256ELj16ELb1EJPaPiS1_jEEvDpT3_.private_seg_size, 0
	.set _Z6kernelI26subtract_left_partial_tileLj256ELj16ELb1EJPaPiS1_jEEvDpT3_.uses_vcc, 1
	.set _Z6kernelI26subtract_left_partial_tileLj256ELj16ELb1EJPaPiS1_jEEvDpT3_.uses_flat_scratch, 0
	.set _Z6kernelI26subtract_left_partial_tileLj256ELj16ELb1EJPaPiS1_jEEvDpT3_.has_dyn_sized_stack, 0
	.set _Z6kernelI26subtract_left_partial_tileLj256ELj16ELb1EJPaPiS1_jEEvDpT3_.has_recursion, 0
	.set _Z6kernelI26subtract_left_partial_tileLj256ELj16ELb1EJPaPiS1_jEEvDpT3_.has_indirect_call, 0
	.section	.AMDGPU.csdata,"",@progbits
; Kernel info:
; codeLenInByte = 3012
; TotalNumSgprs: 14
; NumVgprs: 57
; ScratchSize: 0
; MemoryBound: 0
; FloatMode: 240
; IeeeMode: 1
; LDSByteSize: 512 bytes/workgroup (compile time only)
; SGPRBlocks: 0
; VGPRBlocks: 7
; NumSGPRsForWavesPerEU: 14
; NumVGPRsForWavesPerEU: 57
; Occupancy: 16
; WaveLimiterHint : 1
; COMPUTE_PGM_RSRC2:SCRATCH_EN: 0
; COMPUTE_PGM_RSRC2:USER_SGPR: 2
; COMPUTE_PGM_RSRC2:TRAP_HANDLER: 0
; COMPUTE_PGM_RSRC2:TGID_X_EN: 1
; COMPUTE_PGM_RSRC2:TGID_Y_EN: 0
; COMPUTE_PGM_RSRC2:TGID_Z_EN: 0
; COMPUTE_PGM_RSRC2:TIDIG_COMP_CNT: 0
	.section	.text._Z6kernelI26subtract_left_partial_tileLj256ELj32ELb1EJPaPiS1_jEEvDpT3_,"axG",@progbits,_Z6kernelI26subtract_left_partial_tileLj256ELj32ELb1EJPaPiS1_jEEvDpT3_,comdat
	.protected	_Z6kernelI26subtract_left_partial_tileLj256ELj32ELb1EJPaPiS1_jEEvDpT3_ ; -- Begin function _Z6kernelI26subtract_left_partial_tileLj256ELj32ELb1EJPaPiS1_jEEvDpT3_
	.globl	_Z6kernelI26subtract_left_partial_tileLj256ELj32ELb1EJPaPiS1_jEEvDpT3_
	.p2align	8
	.type	_Z6kernelI26subtract_left_partial_tileLj256ELj32ELb1EJPaPiS1_jEEvDpT3_,@function
_Z6kernelI26subtract_left_partial_tileLj256ELj32ELb1EJPaPiS1_jEEvDpT3_: ; @_Z6kernelI26subtract_left_partial_tileLj256ELj32ELb1EJPaPiS1_jEEvDpT3_
; %bb.0:
	s_load_b128 s[4:7], s[0:1], 0x0
	s_lshl_b32 s8, ttmp9, 13
	s_mov_b32 s9, 0
	s_load_b96 s[0:2], s[0:1], 0x10
	s_mov_b32 s10, ttmp9
	s_mov_b32 s11, s9
	v_lshlrev_b32_e32 v9, 5, v0
	s_lshl_b64 s[10:11], s[10:11], 2
	v_add_nc_u32_e32 v10, -1, v0
	v_cmp_ne_u32_e32 vcc_lo, 0, v0
	s_delay_alu instid0(VALU_DEP_3)
	v_or_b32_e32 v11, 31, v9
	v_or_b32_e32 v12, 30, v9
	;; [unrolled: 1-line block ×9, first 2 shown]
	s_wait_kmcnt 0x0
	s_add_nc_u64 s[4:5], s[4:5], s[8:9]
	s_add_nc_u64 s[6:7], s[6:7], s[10:11]
	s_clause 0x1f
	global_load_u8 v1, v0, s[4:5] offset:256
	global_load_u8 v2, v0, s[4:5] offset:768
	;; [unrolled: 1-line block ×7, first 2 shown]
	global_load_u8 v8, v0, s[4:5]
	global_load_u8 v42, v0, s[4:5] offset:2304
	global_load_u8 v43, v0, s[4:5] offset:2816
	;; [unrolled: 1-line block ×24, first 2 shown]
	s_cvt_f32_u32 s3, s2
	s_sub_co_i32 s4, 0, s2
	v_or_b32_e32 v20, 22, v9
	v_or_b32_e32 v21, 21, v9
	v_rcp_iflag_f32_e32 v30, s3
	v_or_b32_e32 v22, 20, v9
	v_or_b32_e32 v23, 19, v9
	;; [unrolled: 1-line block ×9, first 2 shown]
	v_readfirstlane_b32 s3, v30
	v_or_b32_e32 v30, 12, v9
	v_or_b32_e32 v32, 10, v9
	v_or_b32_e32 v33, 9, v9
	v_or_b32_e32 v34, 8, v9
	s_mul_f32 s3, s3, 0x4f7ffffe
	v_or_b32_e32 v35, 7, v9
	v_or_b32_e32 v36, 6, v9
	v_or_b32_e32 v37, 5, v9
	s_wait_alu 0xfffe
	s_cvt_u32_f32 s3, s3
	v_or_b32_e32 v38, 4, v9
	v_or_b32_e32 v39, 3, v9
	;; [unrolled: 1-line block ×3, first 2 shown]
	s_wait_alu 0xfffe
	s_mul_i32 s4, s4, s3
	v_or_b32_e32 v41, 1, v9
	s_mul_hi_u32 s4, s3, s4
	s_delay_alu instid0(SALU_CYCLE_1)
	s_add_co_i32 s3, s3, s4
	s_mov_b32 s4, s0
	s_wait_alu 0xfffe
	s_lshr_b32 s5, s3, 19
	s_load_b32 s3, s[6:7], 0x0
	s_mul_i32 s0, s5, s2
	s_add_co_i32 s10, s5, 1
	s_sub_co_i32 s0, 0x2000, s0
	s_delay_alu instid0(SALU_CYCLE_1)
	s_sub_co_i32 s11, s0, s2
	s_cmp_ge_u32 s0, s2
	s_cselect_b32 s5, s10, s5
	s_cselect_b32 s0, s11, s0
	s_add_co_i32 s6, s5, 1
	s_cmp_ge_u32 s0, s2
	s_cselect_b32 s0, s6, s5
	s_mov_b32 s5, s1
	s_add_co_i32 s1, s0, 1
	s_wait_loadcnt 0x1b
	v_perm_b32 v4, v5, v4, 0xc0c0004
	s_wait_loadcnt 0x1a
	v_perm_b32 v6, v6, v3, 0xc0c0004
	;; [unrolled: 2-line block ×4, first 2 shown]
	v_lshl_or_b32 v4, v4, 16, v6
	s_delay_alu instid0(VALU_DEP_2)
	v_lshl_or_b32 v3, v2, 16, v1
	s_wait_loadcnt 0x12
	v_perm_b32 v8, v47, v44, 0xc0c0004
	s_wait_loadcnt 0x11
	v_perm_b32 v7, v48, v43, 0xc0c0004
	;; [unrolled: 2-line block ×3, first 2 shown]
	v_perm_b32 v42, v46, v45, 0xc0c0004
	s_wait_loadcnt 0xb
	v_perm_b32 v46, v54, v53, 0xc0c0004
	s_wait_loadcnt 0xa
	v_perm_b32 v45, v55, v52, 0xc0c0004
	s_wait_loadcnt 0x9
	v_perm_b32 v44, v56, v51, 0xc0c0004
	s_wait_loadcnt 0x8
	v_perm_b32 v43, v57, v50, 0xc0c0004
	v_lshl_or_b32 v1, v7, 16, v5
	v_lshl_or_b32 v2, v42, 16, v8
	v_lshl_or_b32 v8, v46, 16, v45
	s_wait_loadcnt 0x3
	v_perm_b32 v47, v62, v58, 0xc0c0004
	s_wait_loadcnt 0x2
	v_perm_b32 v48, v61, v63, 0xc0c0004
	;; [unrolled: 2-line block ×4, first 2 shown]
	v_lshl_or_b32 v7, v44, 16, v43
	v_lshl_or_b32 v5, v48, 16, v47
	s_delay_alu instid0(VALU_DEP_3)
	v_lshl_or_b32 v6, v50, 16, v49
	s_branch .LBB167_2
.LBB167_1:                              ;   in Loop: Header=BB167_2 Depth=1
	s_wait_alu 0xfffe
	s_or_b32 exec_lo, exec_lo, s0
	v_lshrrev_b32_e32 v73, 16, v6
	s_wait_kmcnt 0x0
	v_cmp_gt_u32_e64 s0, s3, v11
	v_lshrrev_b32_e32 v72, 8, v6
	v_lshrrev_b64 v[70:71], 24, v[5:6]
	v_lshrrev_b64 v[44:45], 24, v[3:4]
	v_lshrrev_b32_e32 v69, 16, v5
	s_wait_alu 0xf1ff
	v_cndmask_b32_e64 v51, 0, v73, s0
	v_cmp_gt_u32_e64 s0, s3, v12
	v_lshrrev_b64 v[54:55], 24, v[1:2]
	v_lshrrev_b32_e32 v68, 8, v5
	v_lshrrev_b64 v[62:63], 24, v[7:8]
	v_sub_nc_u16 v74, v42, v51
	s_wait_alu 0xf1ff
	v_cndmask_b32_e64 v59, 0, v72, s0
	v_cmp_gt_u32_e64 s0, s3, v13
	v_lshrrev_b32_e32 v66, 24, v8
	v_lshrrev_b32_e32 v65, 16, v8
	v_lshrrev_b32_e32 v64, 8, v8
	v_sub_nc_u16 v75, v73, v59
	s_wait_alu 0xf1ff
	v_cndmask_b32_e64 v45, 0, v6, s0
	v_cmp_gt_u32_e64 s0, s3, v14
	v_lshrrev_b32_e32 v61, 16, v7
	v_lshrrev_b32_e32 v60, 8, v7
	v_lshrrev_b32_e32 v58, 24, v2
	;; [unrolled: 7-line block ×5, first 2 shown]
	v_sub_nc_u16 v78, v69, v59
	s_wait_alu 0xf1ff
	v_cndmask_b32_e64 v63, 0, v5, s0
	v_cmp_gt_u32_e64 s0, s3, v18
	v_add_nc_u16 v71, v71, v6
	v_add_nc_u16 v72, v76, v72
	;; [unrolled: 1-line block ×3, first 2 shown]
	v_sub_nc_u16 v79, v68, v63
	s_wait_alu 0xf1ff
	v_cndmask_b32_e64 v45, 0, v66, s0
	v_cmp_gt_u32_e64 s0, s3, v19
	v_add_nc_u16 v42, v74, v42
	v_add_nc_u16 v69, v78, v69
	;; [unrolled: 1-line block ×3, first 2 shown]
	v_sub_nc_u16 v67, v5, v45
	s_wait_alu 0xf1ff
	v_cndmask_b32_e64 v51, 0, v65, s0
	v_cmp_gt_u32_e64 s0, s3, v20
	v_add_nc_u16 v70, v77, v70
	s_add_co_i32 s2, s2, -1
	v_add_nc_u16 v67, v67, v5
	v_sub_nc_u16 v80, v66, v51
	v_cndmask_b32_e64 v55, 0, v64, s0
	v_cmp_gt_u32_e64 s0, s3, v21
	v_lshlrev_b16 v79, 8, v70
	s_wait_loadcnt_dscnt 0x0
	v_add_nc_u16 v66, v80, v66
	v_sub_nc_u16 v81, v65, v55
	s_wait_alu 0xf1ff
	v_cndmask_b32_e64 v59, 0, v8, s0
	v_cmp_gt_u32_e64 s0, s3, v22
	v_and_b32_e32 v80, 0xff, v71
	s_barrier_signal -1
	v_add_nc_u16 v65, v81, v65
	v_sub_nc_u16 v82, v64, v59
	s_wait_alu 0xf1ff
	v_cndmask_b32_e64 v63, 0, v62, s0
	v_cmp_gt_u32_e64 s0, s3, v23
	v_lshlrev_b16 v81, 8, v72
	s_barrier_wait -1
	v_add_nc_u16 v64, v82, v64
	v_sub_nc_u16 v63, v8, v63
	s_wait_alu 0xf1ff
	v_cndmask_b32_e64 v45, 0, v61, s0
	v_cmp_gt_u32_e64 s0, s3, v24
	v_and_b32_e32 v82, 0xff, v73
	v_lshlrev_b16 v78, 8, v64
	v_add_nc_u16 v63, v63, v8
	v_sub_nc_u16 v84, v62, v45
	s_wait_alu 0xf1ff
	v_cndmask_b32_e64 v51, 0, v60, s0
	v_cmp_gt_u32_e64 s0, s3, v25
	global_inv scope:SCOPE_SE
	v_and_b32_e32 v77, 0xff, v63
	v_add_nc_u16 v62, v84, v62
	v_sub_nc_u16 v85, v61, v51
	s_wait_alu 0xf1ff
	v_cndmask_b32_e64 v55, 0, v7, s0
	v_cmp_gt_u32_e64 s0, s3, v26
	s_delay_alu instid0(VALU_DEP_3) | instskip(NEXT) | instid1(VALU_DEP_3)
	v_add_nc_u16 v61, v85, v61
	v_sub_nc_u16 v86, v60, v55
	s_wait_alu 0xf1ff
	s_delay_alu instid0(VALU_DEP_3) | instskip(SKIP_1) | instid1(VALU_DEP_3)
	v_cndmask_b32_e64 v59, 0, v58, s0
	v_cmp_gt_u32_e64 s0, s3, v27
	v_add_nc_u16 v60, v86, v60
	s_delay_alu instid0(VALU_DEP_3) | instskip(SKIP_1) | instid1(VALU_DEP_3)
	v_sub_nc_u16 v59, v7, v59
	s_wait_alu 0xf1ff
	v_cndmask_b32_e64 v83, 0, v57, s0
	v_cmp_gt_u32_e64 s0, s3, v28
	s_delay_alu instid0(VALU_DEP_3) | instskip(NEXT) | instid1(VALU_DEP_3)
	v_add_nc_u16 v59, v59, v7
	v_sub_nc_u16 v83, v58, v83
	s_wait_alu 0xf1ff
	s_delay_alu instid0(VALU_DEP_3) | instskip(SKIP_1) | instid1(VALU_DEP_3)
	v_cndmask_b32_e64 v45, 0, v56, s0
	v_cmp_gt_u32_e64 s0, s3, v29
	v_add_nc_u16 v58, v83, v58
	s_delay_alu instid0(VALU_DEP_3) | instskip(SKIP_1) | instid1(VALU_DEP_3)
	v_sub_nc_u16 v87, v57, v45
	s_wait_alu 0xf1ff
	v_cndmask_b32_e64 v51, 0, v2, s0
	v_cmp_gt_u32_e64 s0, s3, v30
	v_lshlrev_b16 v83, 8, v42
	v_add_nc_u16 v57, v87, v57
	s_delay_alu instid0(VALU_DEP_4) | instskip(SKIP_3) | instid1(VALU_DEP_3)
	v_sub_nc_u16 v88, v56, v51
	s_wait_alu 0xf1ff
	v_cndmask_b32_e64 v55, 0, v54, s0
	v_cmp_gt_u32_e64 s0, s3, v39
	v_add_nc_u16 v56, v88, v56
	s_delay_alu instid0(VALU_DEP_3) | instskip(SKIP_1) | instid1(VALU_DEP_3)
	v_sub_nc_u16 v55, v2, v55
	s_wait_alu 0xf1ff
	v_cndmask_b32_e64 v45, 0, v47, s0
	v_cmp_gt_u32_e64 s0, s3, v32
	s_delay_alu instid0(VALU_DEP_3) | instskip(NEXT) | instid1(VALU_DEP_3)
	v_add_nc_u16 v55, v55, v2
	v_sub_nc_u16 v45, v44, v45
	s_wait_alu 0xf1ff
	s_delay_alu instid0(VALU_DEP_3) | instskip(SKIP_2) | instid1(VALU_DEP_1)
	v_cndmask_b32_e64 v51, 0, v52, s0
	v_cmp_gt_u32_e64 s0, s3, v9
	s_wait_alu 0xf1ff
	v_cndmask_b32_e64 v89, 0, v43, s0
	v_cmp_gt_u32_e64 s0, s3, v38
	v_add_nc_u16 v43, v45, v44
	s_delay_alu instid0(VALU_DEP_3) | instskip(SKIP_1) | instid1(VALU_DEP_3)
	v_sub_nc_u16 v45, v3, v89
	s_wait_alu 0xf1ff
	v_cndmask_b32_e64 v90, 0, v44, s0
	v_cmp_gt_u32_e64 s0, s3, v41
	s_delay_alu instid0(VALU_DEP_3) | instskip(NEXT) | instid1(VALU_DEP_3)
	v_add_nc_u16 v45, v45, v3
	v_sub_nc_u16 v89, v4, v90
	s_wait_alu 0xf1ff
	s_delay_alu instid0(VALU_DEP_3) | instskip(SKIP_2) | instid1(VALU_DEP_3)
	v_cndmask_b32_e64 v44, 0, v3, s0
	v_cmp_gt_u32_e64 s0, s3, v40
	v_and_b32_e32 v2, 0xff, v45
	v_sub_nc_u16 v91, v46, v44
	s_wait_alu 0xf1ff
	s_delay_alu instid0(VALU_DEP_3) | instskip(SKIP_3) | instid1(VALU_DEP_4)
	v_cndmask_b32_e64 v90, 0, v46, s0
	v_cmp_gt_u32_e64 s0, s3, v37
	v_add_nc_u16 v44, v89, v4
	v_add_nc_u16 v46, v91, v46
	v_sub_nc_u16 v89, v47, v90
	s_wait_alu 0xf1ff
	v_cndmask_b32_e64 v3, 0, v4, s0
	v_cmp_gt_u32_e64 s0, s3, v36
	v_sub_nc_u16 v91, v53, v51
	v_add_nc_u16 v47, v89, v47
	s_delay_alu instid0(VALU_DEP_4) | instskip(SKIP_3) | instid1(VALU_DEP_3)
	v_sub_nc_u16 v3, v48, v3
	s_wait_alu 0xf1ff
	v_cndmask_b32_e64 v4, 0, v48, s0
	v_cmp_gt_u32_e64 s0, s3, v33
	v_add_nc_u16 v48, v3, v48
	s_delay_alu instid0(VALU_DEP_3) | instskip(SKIP_1) | instid1(VALU_DEP_3)
	v_sub_nc_u16 v4, v49, v4
	s_wait_alu 0xf1ff
	v_cndmask_b32_e64 v90, 0, v1, s0
	v_cmp_gt_u32_e64 s0, s3, v35
	v_lshlrev_b16 v5, 8, v48
	s_delay_alu instid0(VALU_DEP_3) | instskip(SKIP_1) | instid1(VALU_DEP_3)
	v_sub_nc_u16 v90, v52, v90
	s_wait_alu 0xf1ff
	v_cndmask_b32_e64 v89, 0, v49, s0
	v_cmp_gt_u32_e64 s0, s3, v34
	v_add_nc_u16 v49, v4, v49
	v_add_nc_u16 v52, v90, v52
	s_delay_alu instid0(VALU_DEP_4)
	v_sub_nc_u16 v89, v50, v89
	s_wait_alu 0xf1ff
	v_cndmask_b32_e64 v3, 0, v50, s0
	v_cmp_gt_u32_e64 s0, s3, v31
	v_and_b32_e32 v6, 0xff, v49
	v_lshlrev_b16 v74, 8, v52
	v_add_nc_u16 v50, v89, v50
	v_sub_nc_u16 v3, v1, v3
	s_wait_alu 0xf1ff
	v_cndmask_b32_e64 v4, 0, v53, s0
	v_add_nc_u16 v53, v91, v53
	s_add_co_i32 s0, s1, s3
	v_lshlrev_b16 v7, 8, v50
	v_add_nc_u16 v51, v3, v1
	v_sub_nc_u16 v4, v54, v4
	v_lshlrev_b16 v1, 8, v46
	v_lshlrev_b16 v3, 8, v43
	v_and_b32_e32 v75, 0xff, v53
	v_and_b32_e32 v8, 0xff, v51
	v_add_nc_u16 v54, v4, v54
	v_or_b32_e32 v1, v2, v1
	v_and_b32_e32 v2, 0xff, v47
	v_and_b32_e32 v4, 0xff, v44
	s_wait_alu 0xfffe
	s_and_b32 s3, s0, 0x1fff
	v_lshlrev_b16 v76, 8, v54
	v_and_b32_e32 v1, 0xffff, v1
	v_or_b32_e32 v2, v2, v3
	v_or_b32_e32 v3, v4, v5
	;; [unrolled: 1-line block ×5, first 2 shown]
	v_lshlrev_b32_e32 v2, 16, v2
	v_and_b32_e32 v7, 0xffff, v3
	v_lshlrev_b32_e32 v4, 16, v4
	v_and_b32_e32 v5, 0xffff, v5
	v_lshlrev_b32_e32 v6, 16, v6
	v_or_b32_e32 v3, v1, v2
	v_and_b32_e32 v2, 0xff, v55
	v_or_b32_e32 v4, v7, v4
	v_lshlrev_b16 v7, 8, v58
	v_or_b32_e32 v1, v5, v6
	v_lshlrev_b16 v5, 8, v56
	v_and_b32_e32 v6, 0xff, v57
	v_and_b32_e32 v8, 0xff, v59
	v_lshlrev_b16 v74, 8, v60
	v_and_b32_e32 v75, 0xff, v61
	v_lshlrev_b16 v76, 8, v62
	v_or_b32_e32 v2, v2, v5
	v_or_b32_e32 v5, v6, v7
	;; [unrolled: 1-line block ×5, first 2 shown]
	v_and_b32_e32 v74, 0xff, v65
	v_lshlrev_b16 v75, 8, v66
	v_and_b32_e32 v76, 0xff, v67
	v_lshlrev_b16 v77, 8, v68
	v_and_b32_e32 v78, 0xff, v69
	v_and_b32_e32 v2, 0xffff, v2
	v_or_b32_e32 v74, v74, v75
	v_lshlrev_b32_e32 v5, 16, v5
	v_or_b32_e32 v75, v76, v77
	v_or_b32_e32 v76, v78, v79
	;; [unrolled: 1-line block ×4, first 2 shown]
	v_and_b32_e32 v6, 0xffff, v6
	v_lshlrev_b32_e32 v7, 16, v7
	v_and_b32_e32 v8, 0xffff, v8
	v_lshlrev_b32_e32 v74, 16, v74
	;; [unrolled: 2-line block ×4, first 2 shown]
	v_or_b32_e32 v2, v2, v5
	v_or_b32_e32 v7, v6, v7
	;; [unrolled: 1-line block ×5, first 2 shown]
	s_cmp_lg_u32 s2, 0
	s_cbranch_scc0 .LBB167_4
.LBB167_2:                              ; =>This Inner Loop Header: Depth=1
	s_delay_alu instid0(VALU_DEP_1)
	v_lshrrev_b32_e32 v42, 24, v6
	v_mov_b32_e32 v43, 0x7b
	ds_store_b8 v0, v42
	s_wait_dscnt 0x0
	s_barrier_signal -1
	s_barrier_wait -1
	global_inv scope:SCOPE_SE
	s_and_saveexec_b32 s0, vcc_lo
	s_cbranch_execz .LBB167_1
; %bb.3:                                ;   in Loop: Header=BB167_2 Depth=1
	ds_load_u8 v43, v10
	s_branch .LBB167_1
.LBB167_4:
	s_add_nc_u64 s[0:1], s[4:5], s[8:9]
	s_wait_alu 0xfffe
	v_add_co_u32 v0, s0, s0, v0
	s_wait_alu 0xf1ff
	v_add_co_ci_u32_e64 v1, null, s1, 0, s0
	s_clause 0x1f
	global_store_b8 v[0:1], v45, off
	global_store_b8 v[0:1], v46, off offset:256
	global_store_b8 v[0:1], v47, off offset:512
	;; [unrolled: 1-line block ×31, first 2 shown]
	s_endpgm
	.section	.rodata,"a",@progbits
	.p2align	6, 0x0
	.amdhsa_kernel _Z6kernelI26subtract_left_partial_tileLj256ELj32ELb1EJPaPiS1_jEEvDpT3_
		.amdhsa_group_segment_fixed_size 512
		.amdhsa_private_segment_fixed_size 0
		.amdhsa_kernarg_size 28
		.amdhsa_user_sgpr_count 2
		.amdhsa_user_sgpr_dispatch_ptr 0
		.amdhsa_user_sgpr_queue_ptr 0
		.amdhsa_user_sgpr_kernarg_segment_ptr 1
		.amdhsa_user_sgpr_dispatch_id 0
		.amdhsa_user_sgpr_private_segment_size 0
		.amdhsa_wavefront_size32 1
		.amdhsa_uses_dynamic_stack 0
		.amdhsa_enable_private_segment 0
		.amdhsa_system_sgpr_workgroup_id_x 1
		.amdhsa_system_sgpr_workgroup_id_y 0
		.amdhsa_system_sgpr_workgroup_id_z 0
		.amdhsa_system_sgpr_workgroup_info 0
		.amdhsa_system_vgpr_workitem_id 0
		.amdhsa_next_free_vgpr 92
		.amdhsa_next_free_sgpr 12
		.amdhsa_reserve_vcc 1
		.amdhsa_float_round_mode_32 0
		.amdhsa_float_round_mode_16_64 0
		.amdhsa_float_denorm_mode_32 3
		.amdhsa_float_denorm_mode_16_64 3
		.amdhsa_fp16_overflow 0
		.amdhsa_workgroup_processor_mode 1
		.amdhsa_memory_ordered 1
		.amdhsa_forward_progress 1
		.amdhsa_inst_pref_size 27
		.amdhsa_round_robin_scheduling 0
		.amdhsa_exception_fp_ieee_invalid_op 0
		.amdhsa_exception_fp_denorm_src 0
		.amdhsa_exception_fp_ieee_div_zero 0
		.amdhsa_exception_fp_ieee_overflow 0
		.amdhsa_exception_fp_ieee_underflow 0
		.amdhsa_exception_fp_ieee_inexact 0
		.amdhsa_exception_int_div_zero 0
	.end_amdhsa_kernel
	.section	.text._Z6kernelI26subtract_left_partial_tileLj256ELj32ELb1EJPaPiS1_jEEvDpT3_,"axG",@progbits,_Z6kernelI26subtract_left_partial_tileLj256ELj32ELb1EJPaPiS1_jEEvDpT3_,comdat
.Lfunc_end167:
	.size	_Z6kernelI26subtract_left_partial_tileLj256ELj32ELb1EJPaPiS1_jEEvDpT3_, .Lfunc_end167-_Z6kernelI26subtract_left_partial_tileLj256ELj32ELb1EJPaPiS1_jEEvDpT3_
                                        ; -- End function
	.set _Z6kernelI26subtract_left_partial_tileLj256ELj32ELb1EJPaPiS1_jEEvDpT3_.num_vgpr, 92
	.set _Z6kernelI26subtract_left_partial_tileLj256ELj32ELb1EJPaPiS1_jEEvDpT3_.num_agpr, 0
	.set _Z6kernelI26subtract_left_partial_tileLj256ELj32ELb1EJPaPiS1_jEEvDpT3_.numbered_sgpr, 12
	.set _Z6kernelI26subtract_left_partial_tileLj256ELj32ELb1EJPaPiS1_jEEvDpT3_.num_named_barrier, 0
	.set _Z6kernelI26subtract_left_partial_tileLj256ELj32ELb1EJPaPiS1_jEEvDpT3_.private_seg_size, 0
	.set _Z6kernelI26subtract_left_partial_tileLj256ELj32ELb1EJPaPiS1_jEEvDpT3_.uses_vcc, 1
	.set _Z6kernelI26subtract_left_partial_tileLj256ELj32ELb1EJPaPiS1_jEEvDpT3_.uses_flat_scratch, 0
	.set _Z6kernelI26subtract_left_partial_tileLj256ELj32ELb1EJPaPiS1_jEEvDpT3_.has_dyn_sized_stack, 0
	.set _Z6kernelI26subtract_left_partial_tileLj256ELj32ELb1EJPaPiS1_jEEvDpT3_.has_recursion, 0
	.set _Z6kernelI26subtract_left_partial_tileLj256ELj32ELb1EJPaPiS1_jEEvDpT3_.has_indirect_call, 0
	.section	.AMDGPU.csdata,"",@progbits
; Kernel info:
; codeLenInByte = 3360
; TotalNumSgprs: 14
; NumVgprs: 92
; ScratchSize: 0
; MemoryBound: 0
; FloatMode: 240
; IeeeMode: 1
; LDSByteSize: 512 bytes/workgroup (compile time only)
; SGPRBlocks: 0
; VGPRBlocks: 11
; NumSGPRsForWavesPerEU: 14
; NumVGPRsForWavesPerEU: 92
; Occupancy: 16
; WaveLimiterHint : 1
; COMPUTE_PGM_RSRC2:SCRATCH_EN: 0
; COMPUTE_PGM_RSRC2:USER_SGPR: 2
; COMPUTE_PGM_RSRC2:TRAP_HANDLER: 0
; COMPUTE_PGM_RSRC2:TGID_X_EN: 1
; COMPUTE_PGM_RSRC2:TGID_Y_EN: 0
; COMPUTE_PGM_RSRC2:TGID_Z_EN: 0
; COMPUTE_PGM_RSRC2:TIDIG_COMP_CNT: 0
	.section	.text._Z6kernelI26subtract_left_partial_tileLj256ELj1ELb1EJPxPiS1_jEEvDpT3_,"axG",@progbits,_Z6kernelI26subtract_left_partial_tileLj256ELj1ELb1EJPxPiS1_jEEvDpT3_,comdat
	.protected	_Z6kernelI26subtract_left_partial_tileLj256ELj1ELb1EJPxPiS1_jEEvDpT3_ ; -- Begin function _Z6kernelI26subtract_left_partial_tileLj256ELj1ELb1EJPxPiS1_jEEvDpT3_
	.globl	_Z6kernelI26subtract_left_partial_tileLj256ELj1ELb1EJPxPiS1_jEEvDpT3_
	.p2align	8
	.type	_Z6kernelI26subtract_left_partial_tileLj256ELj1ELb1EJPxPiS1_jEEvDpT3_,@function
_Z6kernelI26subtract_left_partial_tileLj256ELj1ELb1EJPxPiS1_jEEvDpT3_: ; @_Z6kernelI26subtract_left_partial_tileLj256ELj1ELb1EJPxPiS1_jEEvDpT3_
; %bb.0:
	s_load_b128 s[8:11], s[0:1], 0x0
	s_lshl_b32 s6, ttmp9, 8
	s_mov_b32 s7, 0
	v_lshlrev_b32_e32 v5, 3, v0
	s_lshl_b64 s[4:5], s[6:7], 3
	s_load_b96 s[0:2], s[0:1], 0x10
	v_cmp_ne_u32_e32 vcc_lo, 0, v0
	s_delay_alu instid0(VALU_DEP_2)
	v_add_nc_u32_e32 v6, -8, v5
	s_wait_kmcnt 0x0
	s_add_nc_u64 s[8:9], s[8:9], s[4:5]
	global_load_b64 v[1:2], v5, s[8:9]
	s_cvt_f32_u32 s3, s2
	s_sub_co_i32 s6, 0, s2
	s_delay_alu instid0(SALU_CYCLE_2) | instskip(NEXT) | instid1(TRANS32_DEP_1)
	v_rcp_iflag_f32_e32 v3, s3
	v_readfirstlane_b32 s3, v3
	s_mul_f32 s3, s3, 0x4f7ffffe
	s_wait_alu 0xfffe
	s_delay_alu instid0(SALU_CYCLE_2) | instskip(SKIP_1) | instid1(SALU_CYCLE_2)
	s_cvt_u32_f32 s3, s3
	s_wait_alu 0xfffe
	s_mul_i32 s8, s6, s3
	s_mov_b32 s6, ttmp9
	s_mul_hi_u32 s8, s3, s8
	s_lshl_b64 s[6:7], s[6:7], 2
	s_add_co_i32 s8, s3, s8
	s_add_nc_u64 s[6:7], s[10:11], s[6:7]
	s_load_b32 s3, s[6:7], 0x0
	s_lshr_b32 s7, s8, 24
	s_delay_alu instid0(SALU_CYCLE_1)
	s_mul_i32 s6, s7, s2
	s_add_co_i32 s9, s7, 1
	s_sub_co_i32 s8, 0x100, s6
	s_mov_b32 s6, s0
	s_sub_co_i32 s10, s8, s2
	s_cmp_ge_u32 s8, s2
	s_cselect_b32 s0, s9, s7
	s_cselect_b32 s7, s10, s8
	s_add_co_i32 s8, s0, 1
	s_cmp_ge_u32 s7, s2
	s_mov_b32 s7, s1
	s_cselect_b32 s0, s8, s0
	s_delay_alu instid0(SALU_CYCLE_1)
	s_add_co_i32 s1, s0, 1
	s_branch .LBB168_2
.LBB168_1:                              ;   in Loop: Header=BB168_2 Depth=1
	s_wait_alu 0xfffe
	s_or_b32 exec_lo, exec_lo, s0
	s_wait_kmcnt 0x0
	v_cmp_gt_u32_e64 s0, s3, v0
	v_lshlrev_b64_e32 v[1:2], 1, v[1:2]
	s_add_co_i32 s2, s2, -1
	s_wait_loadcnt_dscnt 0x0
	s_barrier_signal -1
	v_cndmask_b32_e64 v3, 0, v3, s0
	v_cndmask_b32_e64 v4, 0, v4, s0
	s_add_co_i32 s0, s1, s3
	s_barrier_wait -1
	s_wait_alu 0xfffe
	s_and_b32 s3, s0, 0xff
	v_sub_co_u32 v1, s0, v1, v3
	s_wait_alu 0xf1ff
	v_sub_co_ci_u32_e64 v2, null, v2, v4, s0
	s_cmp_lg_u32 s2, 0
	global_inv scope:SCOPE_SE
	s_cbranch_scc0 .LBB168_4
.LBB168_2:                              ; =>This Inner Loop Header: Depth=1
	v_mov_b32_e32 v3, 0x7b
	v_mov_b32_e32 v4, 0
	s_wait_loadcnt 0x0
	ds_store_b64 v5, v[1:2]
	s_wait_dscnt 0x0
	s_barrier_signal -1
	s_barrier_wait -1
	global_inv scope:SCOPE_SE
	s_and_saveexec_b32 s0, vcc_lo
	s_cbranch_execz .LBB168_1
; %bb.3:                                ;   in Loop: Header=BB168_2 Depth=1
	ds_load_b64 v[3:4], v6
	s_branch .LBB168_1
.LBB168_4:
	v_lshlrev_b32_e32 v0, 3, v0
	s_add_nc_u64 s[0:1], s[6:7], s[4:5]
	global_store_b64 v0, v[1:2], s[0:1]
	s_endpgm
	.section	.rodata,"a",@progbits
	.p2align	6, 0x0
	.amdhsa_kernel _Z6kernelI26subtract_left_partial_tileLj256ELj1ELb1EJPxPiS1_jEEvDpT3_
		.amdhsa_group_segment_fixed_size 4096
		.amdhsa_private_segment_fixed_size 0
		.amdhsa_kernarg_size 28
		.amdhsa_user_sgpr_count 2
		.amdhsa_user_sgpr_dispatch_ptr 0
		.amdhsa_user_sgpr_queue_ptr 0
		.amdhsa_user_sgpr_kernarg_segment_ptr 1
		.amdhsa_user_sgpr_dispatch_id 0
		.amdhsa_user_sgpr_private_segment_size 0
		.amdhsa_wavefront_size32 1
		.amdhsa_uses_dynamic_stack 0
		.amdhsa_enable_private_segment 0
		.amdhsa_system_sgpr_workgroup_id_x 1
		.amdhsa_system_sgpr_workgroup_id_y 0
		.amdhsa_system_sgpr_workgroup_id_z 0
		.amdhsa_system_sgpr_workgroup_info 0
		.amdhsa_system_vgpr_workitem_id 0
		.amdhsa_next_free_vgpr 7
		.amdhsa_next_free_sgpr 12
		.amdhsa_reserve_vcc 1
		.amdhsa_float_round_mode_32 0
		.amdhsa_float_round_mode_16_64 0
		.amdhsa_float_denorm_mode_32 3
		.amdhsa_float_denorm_mode_16_64 3
		.amdhsa_fp16_overflow 0
		.amdhsa_workgroup_processor_mode 1
		.amdhsa_memory_ordered 1
		.amdhsa_forward_progress 1
		.amdhsa_inst_pref_size 4
		.amdhsa_round_robin_scheduling 0
		.amdhsa_exception_fp_ieee_invalid_op 0
		.amdhsa_exception_fp_denorm_src 0
		.amdhsa_exception_fp_ieee_div_zero 0
		.amdhsa_exception_fp_ieee_overflow 0
		.amdhsa_exception_fp_ieee_underflow 0
		.amdhsa_exception_fp_ieee_inexact 0
		.amdhsa_exception_int_div_zero 0
	.end_amdhsa_kernel
	.section	.text._Z6kernelI26subtract_left_partial_tileLj256ELj1ELb1EJPxPiS1_jEEvDpT3_,"axG",@progbits,_Z6kernelI26subtract_left_partial_tileLj256ELj1ELb1EJPxPiS1_jEEvDpT3_,comdat
.Lfunc_end168:
	.size	_Z6kernelI26subtract_left_partial_tileLj256ELj1ELb1EJPxPiS1_jEEvDpT3_, .Lfunc_end168-_Z6kernelI26subtract_left_partial_tileLj256ELj1ELb1EJPxPiS1_jEEvDpT3_
                                        ; -- End function
	.set _Z6kernelI26subtract_left_partial_tileLj256ELj1ELb1EJPxPiS1_jEEvDpT3_.num_vgpr, 7
	.set _Z6kernelI26subtract_left_partial_tileLj256ELj1ELb1EJPxPiS1_jEEvDpT3_.num_agpr, 0
	.set _Z6kernelI26subtract_left_partial_tileLj256ELj1ELb1EJPxPiS1_jEEvDpT3_.numbered_sgpr, 12
	.set _Z6kernelI26subtract_left_partial_tileLj256ELj1ELb1EJPxPiS1_jEEvDpT3_.num_named_barrier, 0
	.set _Z6kernelI26subtract_left_partial_tileLj256ELj1ELb1EJPxPiS1_jEEvDpT3_.private_seg_size, 0
	.set _Z6kernelI26subtract_left_partial_tileLj256ELj1ELb1EJPxPiS1_jEEvDpT3_.uses_vcc, 1
	.set _Z6kernelI26subtract_left_partial_tileLj256ELj1ELb1EJPxPiS1_jEEvDpT3_.uses_flat_scratch, 0
	.set _Z6kernelI26subtract_left_partial_tileLj256ELj1ELb1EJPxPiS1_jEEvDpT3_.has_dyn_sized_stack, 0
	.set _Z6kernelI26subtract_left_partial_tileLj256ELj1ELb1EJPxPiS1_jEEvDpT3_.has_recursion, 0
	.set _Z6kernelI26subtract_left_partial_tileLj256ELj1ELb1EJPxPiS1_jEEvDpT3_.has_indirect_call, 0
	.section	.AMDGPU.csdata,"",@progbits
; Kernel info:
; codeLenInByte = 416
; TotalNumSgprs: 14
; NumVgprs: 7
; ScratchSize: 0
; MemoryBound: 0
; FloatMode: 240
; IeeeMode: 1
; LDSByteSize: 4096 bytes/workgroup (compile time only)
; SGPRBlocks: 0
; VGPRBlocks: 0
; NumSGPRsForWavesPerEU: 14
; NumVGPRsForWavesPerEU: 7
; Occupancy: 16
; WaveLimiterHint : 0
; COMPUTE_PGM_RSRC2:SCRATCH_EN: 0
; COMPUTE_PGM_RSRC2:USER_SGPR: 2
; COMPUTE_PGM_RSRC2:TRAP_HANDLER: 0
; COMPUTE_PGM_RSRC2:TGID_X_EN: 1
; COMPUTE_PGM_RSRC2:TGID_Y_EN: 0
; COMPUTE_PGM_RSRC2:TGID_Z_EN: 0
; COMPUTE_PGM_RSRC2:TIDIG_COMP_CNT: 0
	.section	.text._Z6kernelI26subtract_left_partial_tileLj256ELj3ELb1EJPxPiS1_jEEvDpT3_,"axG",@progbits,_Z6kernelI26subtract_left_partial_tileLj256ELj3ELb1EJPxPiS1_jEEvDpT3_,comdat
	.protected	_Z6kernelI26subtract_left_partial_tileLj256ELj3ELb1EJPxPiS1_jEEvDpT3_ ; -- Begin function _Z6kernelI26subtract_left_partial_tileLj256ELj3ELb1EJPxPiS1_jEEvDpT3_
	.globl	_Z6kernelI26subtract_left_partial_tileLj256ELj3ELb1EJPxPiS1_jEEvDpT3_
	.p2align	8
	.type	_Z6kernelI26subtract_left_partial_tileLj256ELj3ELb1EJPxPiS1_jEEvDpT3_,@function
_Z6kernelI26subtract_left_partial_tileLj256ELj3ELb1EJPxPiS1_jEEvDpT3_: ; @_Z6kernelI26subtract_left_partial_tileLj256ELj3ELb1EJPxPiS1_jEEvDpT3_
; %bb.0:
	s_load_b128 s[8:11], s[0:1], 0x0
	s_mul_i32 s6, ttmp9, 0x300
	s_mov_b32 s7, 0
	v_lshlrev_b32_e32 v9, 3, v0
	s_lshl_b64 s[4:5], s[6:7], 3
	s_load_b96 s[0:2], s[0:1], 0x10
	v_mul_u32_u24_e32 v10, 3, v0
	v_mad_u32_u24 v11, v0, 3, 2
	v_mad_u32_u24 v12, v0, 3, 1
	v_add_nc_u32_e32 v13, -8, v9
	v_cmp_ne_u32_e32 vcc_lo, 0, v0
	s_wait_kmcnt 0x0
	s_add_nc_u64 s[8:9], s[8:9], s[4:5]
	s_clause 0x2
	global_load_b64 v[1:2], v9, s[8:9]
	global_load_b64 v[3:4], v9, s[8:9] offset:2048
	global_load_b64 v[5:6], v9, s[8:9] offset:4096
	s_cvt_f32_u32 s3, s2
	s_sub_co_i32 s6, 0, s2
	s_delay_alu instid0(SALU_CYCLE_2) | instskip(NEXT) | instid1(TRANS32_DEP_1)
	v_rcp_iflag_f32_e32 v7, s3
	v_readfirstlane_b32 s3, v7
	s_mul_f32 s3, s3, 0x4f7ffffe
	s_wait_alu 0xfffe
	s_delay_alu instid0(SALU_CYCLE_2) | instskip(SKIP_1) | instid1(SALU_CYCLE_2)
	s_cvt_u32_f32 s3, s3
	s_wait_alu 0xfffe
	s_mul_i32 s6, s6, s3
	s_delay_alu instid0(SALU_CYCLE_1)
	s_mul_hi_u32 s8, s3, s6
	s_mov_b32 s6, ttmp9
	s_add_co_i32 s3, s3, s8
	s_lshl_b64 s[6:7], s[6:7], 2
	s_wait_alu 0xfffe
	s_mul_hi_u32 s8, s3, 0x300
	s_add_nc_u64 s[6:7], s[10:11], s[6:7]
	s_add_co_i32 s9, s8, 1
	s_load_b32 s3, s[6:7], 0x0
	s_mul_i32 s6, s8, s2
	s_delay_alu instid0(SALU_CYCLE_1)
	s_sub_co_i32 s7, 0x300, s6
	s_mov_b32 s6, s0
	s_sub_co_i32 s10, s7, s2
	s_cmp_ge_u32 s7, s2
	s_cselect_b32 s0, s9, s8
	s_cselect_b32 s7, s10, s7
	s_add_co_i32 s8, s0, 1
	s_cmp_ge_u32 s7, s2
	s_mov_b32 s7, s1
	s_cselect_b32 s8, s8, s0
	s_delay_alu instid0(SALU_CYCLE_1)
	s_add_co_i32 s8, s8, 1
	s_branch .LBB169_2
.LBB169_1:                              ;   in Loop: Header=BB169_2 Depth=1
	s_wait_alu 0xfffe
	s_or_b32 exec_lo, exec_lo, s0
	s_wait_kmcnt 0x0
	v_cmp_gt_u32_e64 s0, s3, v11
	v_cmp_gt_u32_e64 s1, s3, v12
	s_add_co_i32 s2, s2, -1
	s_wait_loadcnt_dscnt 0x0
	s_barrier_signal -1
	v_cndmask_b32_e64 v14, 0, v4, s0
	v_cndmask_b32_e64 v15, 0, v3, s0
	v_cmp_gt_u32_e64 s0, s3, v10
	v_cndmask_b32_e64 v17, 0, v1, s1
	v_cndmask_b32_e64 v16, 0, v2, s1
	s_barrier_wait -1
	v_sub_co_u32 v15, s1, v5, v15
	s_wait_alu 0xf1ff
	v_cndmask_b32_e64 v7, 0, v7, s0
	v_cndmask_b32_e64 v8, 0, v8, s0
	v_sub_co_u32 v17, s0, v3, v17
	s_wait_alu 0xf1ff
	v_sub_co_ci_u32_e64 v16, null, v4, v16, s0
	v_sub_co_u32 v7, s0, v1, v7
	s_wait_alu 0xf1ff
	v_sub_co_ci_u32_e64 v8, null, v2, v8, s0
	v_sub_co_ci_u32_e64 v14, null, v6, v14, s1
	s_add_co_i32 s1, s8, s3
	v_add_co_u32 v1, s0, v7, v1
	s_wait_alu 0xfffe
	s_mul_hi_u32 s3, s1, 0xaaaaaaab
	v_add_co_ci_u32_e64 v2, null, v8, v2, s0
	v_add_co_u32 v3, s0, v17, v3
	s_wait_alu 0xfffe
	s_lshr_b32 s3, s3, 9
	v_add_co_ci_u32_e64 v4, null, v16, v4, s0
	v_add_co_u32 v5, s0, v15, v5
	s_wait_alu 0xfffe
	s_mulk_i32 s3, 0x300
	v_add_co_ci_u32_e64 v6, null, v14, v6, s0
	s_wait_alu 0xfffe
	s_sub_co_i32 s3, s1, s3
	s_cmp_lg_u32 s2, 0
	global_inv scope:SCOPE_SE
	s_cbranch_scc0 .LBB169_4
.LBB169_2:                              ; =>This Inner Loop Header: Depth=1
	v_mov_b32_e32 v7, 0x7b
	v_mov_b32_e32 v8, 0
	s_wait_loadcnt 0x0
	ds_store_b64 v9, v[5:6]
	s_wait_dscnt 0x0
	s_barrier_signal -1
	s_barrier_wait -1
	global_inv scope:SCOPE_SE
	s_and_saveexec_b32 s0, vcc_lo
	s_cbranch_execz .LBB169_1
; %bb.3:                                ;   in Loop: Header=BB169_2 Depth=1
	ds_load_b64 v[7:8], v13
	s_branch .LBB169_1
.LBB169_4:
	v_lshlrev_b32_e32 v0, 3, v0
	s_add_nc_u64 s[0:1], s[6:7], s[4:5]
	s_clause 0x2
	global_store_b64 v0, v[1:2], s[0:1]
	global_store_b64 v0, v[3:4], s[0:1] offset:2048
	global_store_b64 v0, v[5:6], s[0:1] offset:4096
	s_endpgm
	.section	.rodata,"a",@progbits
	.p2align	6, 0x0
	.amdhsa_kernel _Z6kernelI26subtract_left_partial_tileLj256ELj3ELb1EJPxPiS1_jEEvDpT3_
		.amdhsa_group_segment_fixed_size 4096
		.amdhsa_private_segment_fixed_size 0
		.amdhsa_kernarg_size 28
		.amdhsa_user_sgpr_count 2
		.amdhsa_user_sgpr_dispatch_ptr 0
		.amdhsa_user_sgpr_queue_ptr 0
		.amdhsa_user_sgpr_kernarg_segment_ptr 1
		.amdhsa_user_sgpr_dispatch_id 0
		.amdhsa_user_sgpr_private_segment_size 0
		.amdhsa_wavefront_size32 1
		.amdhsa_uses_dynamic_stack 0
		.amdhsa_enable_private_segment 0
		.amdhsa_system_sgpr_workgroup_id_x 1
		.amdhsa_system_sgpr_workgroup_id_y 0
		.amdhsa_system_sgpr_workgroup_id_z 0
		.amdhsa_system_sgpr_workgroup_info 0
		.amdhsa_system_vgpr_workitem_id 0
		.amdhsa_next_free_vgpr 18
		.amdhsa_next_free_sgpr 12
		.amdhsa_reserve_vcc 1
		.amdhsa_float_round_mode_32 0
		.amdhsa_float_round_mode_16_64 0
		.amdhsa_float_denorm_mode_32 3
		.amdhsa_float_denorm_mode_16_64 3
		.amdhsa_fp16_overflow 0
		.amdhsa_workgroup_processor_mode 1
		.amdhsa_memory_ordered 1
		.amdhsa_forward_progress 1
		.amdhsa_inst_pref_size 6
		.amdhsa_round_robin_scheduling 0
		.amdhsa_exception_fp_ieee_invalid_op 0
		.amdhsa_exception_fp_denorm_src 0
		.amdhsa_exception_fp_ieee_div_zero 0
		.amdhsa_exception_fp_ieee_overflow 0
		.amdhsa_exception_fp_ieee_underflow 0
		.amdhsa_exception_fp_ieee_inexact 0
		.amdhsa_exception_int_div_zero 0
	.end_amdhsa_kernel
	.section	.text._Z6kernelI26subtract_left_partial_tileLj256ELj3ELb1EJPxPiS1_jEEvDpT3_,"axG",@progbits,_Z6kernelI26subtract_left_partial_tileLj256ELj3ELb1EJPxPiS1_jEEvDpT3_,comdat
.Lfunc_end169:
	.size	_Z6kernelI26subtract_left_partial_tileLj256ELj3ELb1EJPxPiS1_jEEvDpT3_, .Lfunc_end169-_Z6kernelI26subtract_left_partial_tileLj256ELj3ELb1EJPxPiS1_jEEvDpT3_
                                        ; -- End function
	.set _Z6kernelI26subtract_left_partial_tileLj256ELj3ELb1EJPxPiS1_jEEvDpT3_.num_vgpr, 18
	.set _Z6kernelI26subtract_left_partial_tileLj256ELj3ELb1EJPxPiS1_jEEvDpT3_.num_agpr, 0
	.set _Z6kernelI26subtract_left_partial_tileLj256ELj3ELb1EJPxPiS1_jEEvDpT3_.numbered_sgpr, 12
	.set _Z6kernelI26subtract_left_partial_tileLj256ELj3ELb1EJPxPiS1_jEEvDpT3_.num_named_barrier, 0
	.set _Z6kernelI26subtract_left_partial_tileLj256ELj3ELb1EJPxPiS1_jEEvDpT3_.private_seg_size, 0
	.set _Z6kernelI26subtract_left_partial_tileLj256ELj3ELb1EJPxPiS1_jEEvDpT3_.uses_vcc, 1
	.set _Z6kernelI26subtract_left_partial_tileLj256ELj3ELb1EJPxPiS1_jEEvDpT3_.uses_flat_scratch, 0
	.set _Z6kernelI26subtract_left_partial_tileLj256ELj3ELb1EJPxPiS1_jEEvDpT3_.has_dyn_sized_stack, 0
	.set _Z6kernelI26subtract_left_partial_tileLj256ELj3ELb1EJPxPiS1_jEEvDpT3_.has_recursion, 0
	.set _Z6kernelI26subtract_left_partial_tileLj256ELj3ELb1EJPxPiS1_jEEvDpT3_.has_indirect_call, 0
	.section	.AMDGPU.csdata,"",@progbits
; Kernel info:
; codeLenInByte = 660
; TotalNumSgprs: 14
; NumVgprs: 18
; ScratchSize: 0
; MemoryBound: 0
; FloatMode: 240
; IeeeMode: 1
; LDSByteSize: 4096 bytes/workgroup (compile time only)
; SGPRBlocks: 0
; VGPRBlocks: 2
; NumSGPRsForWavesPerEU: 14
; NumVGPRsForWavesPerEU: 18
; Occupancy: 16
; WaveLimiterHint : 1
; COMPUTE_PGM_RSRC2:SCRATCH_EN: 0
; COMPUTE_PGM_RSRC2:USER_SGPR: 2
; COMPUTE_PGM_RSRC2:TRAP_HANDLER: 0
; COMPUTE_PGM_RSRC2:TGID_X_EN: 1
; COMPUTE_PGM_RSRC2:TGID_Y_EN: 0
; COMPUTE_PGM_RSRC2:TGID_Z_EN: 0
; COMPUTE_PGM_RSRC2:TIDIG_COMP_CNT: 0
	.section	.text._Z6kernelI26subtract_left_partial_tileLj256ELj4ELb1EJPxPiS1_jEEvDpT3_,"axG",@progbits,_Z6kernelI26subtract_left_partial_tileLj256ELj4ELb1EJPxPiS1_jEEvDpT3_,comdat
	.protected	_Z6kernelI26subtract_left_partial_tileLj256ELj4ELb1EJPxPiS1_jEEvDpT3_ ; -- Begin function _Z6kernelI26subtract_left_partial_tileLj256ELj4ELb1EJPxPiS1_jEEvDpT3_
	.globl	_Z6kernelI26subtract_left_partial_tileLj256ELj4ELb1EJPxPiS1_jEEvDpT3_
	.p2align	8
	.type	_Z6kernelI26subtract_left_partial_tileLj256ELj4ELb1EJPxPiS1_jEEvDpT3_,@function
_Z6kernelI26subtract_left_partial_tileLj256ELj4ELb1EJPxPiS1_jEEvDpT3_: ; @_Z6kernelI26subtract_left_partial_tileLj256ELj4ELb1EJPxPiS1_jEEvDpT3_
; %bb.0:
	s_load_b128 s[8:11], s[0:1], 0x0
	s_lshl_b32 s6, ttmp9, 10
	s_mov_b32 s7, 0
	v_lshlrev_b32_e32 v11, 3, v0
	s_lshl_b64 s[4:5], s[6:7], 3
	s_load_b96 s[0:2], s[0:1], 0x10
	v_lshlrev_b32_e32 v12, 2, v0
	v_cmp_ne_u32_e32 vcc_lo, 0, v0
	v_add_nc_u32_e32 v16, -8, v11
	s_delay_alu instid0(VALU_DEP_3)
	v_or_b32_e32 v13, 3, v12
	v_or_b32_e32 v14, 2, v12
	;; [unrolled: 1-line block ×3, first 2 shown]
	s_wait_kmcnt 0x0
	s_add_nc_u64 s[8:9], s[8:9], s[4:5]
	s_clause 0x3
	global_load_b64 v[1:2], v11, s[8:9]
	global_load_b64 v[3:4], v11, s[8:9] offset:2048
	global_load_b64 v[5:6], v11, s[8:9] offset:4096
	;; [unrolled: 1-line block ×3, first 2 shown]
	s_cvt_f32_u32 s3, s2
	s_sub_co_i32 s6, 0, s2
	s_delay_alu instid0(SALU_CYCLE_2) | instskip(NEXT) | instid1(TRANS32_DEP_1)
	v_rcp_iflag_f32_e32 v9, s3
	v_readfirstlane_b32 s3, v9
	s_mul_f32 s3, s3, 0x4f7ffffe
	s_wait_alu 0xfffe
	s_delay_alu instid0(SALU_CYCLE_2) | instskip(SKIP_1) | instid1(SALU_CYCLE_2)
	s_cvt_u32_f32 s3, s3
	s_wait_alu 0xfffe
	s_mul_i32 s6, s6, s3
	s_delay_alu instid0(SALU_CYCLE_1)
	s_mul_hi_u32 s8, s3, s6
	s_mov_b32 s6, ttmp9
	s_add_co_i32 s3, s3, s8
	s_lshl_b64 s[6:7], s[6:7], 2
	s_wait_alu 0xfffe
	s_lshr_b32 s8, s3, 22
	s_add_nc_u64 s[6:7], s[10:11], s[6:7]
	s_load_b32 s3, s[6:7], 0x0
	s_mul_i32 s7, s8, s2
	s_mov_b32 s6, s0
	s_sub_co_i32 s0, 0x400, s7
	s_add_co_i32 s7, s8, 1
	s_sub_co_i32 s9, s0, s2
	s_cmp_ge_u32 s0, s2
	s_cselect_b32 s7, s7, s8
	s_cselect_b32 s0, s9, s0
	s_add_co_i32 s8, s7, 1
	s_cmp_ge_u32 s0, s2
	s_cselect_b32 s8, s8, s7
	s_mov_b32 s7, s1
	s_add_co_i32 s8, s8, 1
	s_branch .LBB170_2
.LBB170_1:                              ;   in Loop: Header=BB170_2 Depth=1
	s_wait_alu 0xfffe
	s_or_b32 exec_lo, exec_lo, s0
	s_wait_kmcnt 0x0
	v_cmp_gt_u32_e64 s0, s3, v13
	v_cmp_gt_u32_e64 s1, s3, v14
	s_add_co_i32 s2, s2, -1
	s_wait_loadcnt_dscnt 0x0
	s_barrier_signal -1
	v_cndmask_b32_e64 v18, 0, v5, s0
	v_cndmask_b32_e64 v17, 0, v6, s0
	;; [unrolled: 1-line block ×3, first 2 shown]
	v_cmp_gt_u32_e64 s0, s3, v12
	v_cndmask_b32_e64 v20, 0, v3, s1
	v_sub_co_u32 v18, s1, v7, v18
	s_wait_alu 0xf1ff
	v_sub_co_ci_u32_e64 v17, null, v8, v17, s1
	v_cmp_gt_u32_e64 s1, s3, v15
	v_cndmask_b32_e64 v9, 0, v9, s0
	v_cndmask_b32_e64 v10, 0, v10, s0
	v_sub_co_u32 v20, s0, v5, v20
	s_wait_alu 0xf1ff
	v_cndmask_b32_e64 v22, 0, v1, s1
	v_cndmask_b32_e64 v21, 0, v2, s1
	v_sub_co_ci_u32_e64 v19, null, v6, v19, s0
	v_sub_co_u32 v9, s0, v1, v9
	s_wait_alu 0xf1ff
	v_sub_co_ci_u32_e64 v10, null, v2, v10, s0
	v_sub_co_u32 v22, s0, v3, v22
	s_wait_alu 0xf1ff
	v_sub_co_ci_u32_e64 v21, null, v4, v21, s0
	v_add_co_u32 v1, s0, v9, v1
	s_wait_alu 0xf1ff
	v_add_co_ci_u32_e64 v2, null, v10, v2, s0
	v_add_co_u32 v3, s0, v22, v3
	s_wait_alu 0xf1ff
	v_add_co_ci_u32_e64 v4, null, v21, v4, s0
	;; [unrolled: 3-line block ×3, first 2 shown]
	v_add_co_u32 v7, s0, v18, v7
	s_add_co_i32 s1, s8, s3
	v_add_co_ci_u32_e64 v8, null, v17, v8, s0
	s_wait_alu 0xfffe
	s_and_b32 s3, s1, 0x3ff
	s_cmp_lg_u32 s2, 0
	s_barrier_wait -1
	global_inv scope:SCOPE_SE
	s_cbranch_scc0 .LBB170_4
.LBB170_2:                              ; =>This Inner Loop Header: Depth=1
	v_mov_b32_e32 v9, 0x7b
	v_mov_b32_e32 v10, 0
	s_wait_loadcnt 0x0
	ds_store_b64 v11, v[7:8]
	s_wait_dscnt 0x0
	s_barrier_signal -1
	s_barrier_wait -1
	global_inv scope:SCOPE_SE
	s_and_saveexec_b32 s0, vcc_lo
	s_cbranch_execz .LBB170_1
; %bb.3:                                ;   in Loop: Header=BB170_2 Depth=1
	ds_load_b64 v[9:10], v16
	s_branch .LBB170_1
.LBB170_4:
	v_lshlrev_b32_e32 v0, 3, v0
	s_add_nc_u64 s[0:1], s[6:7], s[4:5]
	s_clause 0x3
	global_store_b64 v0, v[1:2], s[0:1]
	global_store_b64 v0, v[3:4], s[0:1] offset:2048
	global_store_b64 v0, v[5:6], s[0:1] offset:4096
	global_store_b64 v0, v[7:8], s[0:1] offset:6144
	s_endpgm
	.section	.rodata,"a",@progbits
	.p2align	6, 0x0
	.amdhsa_kernel _Z6kernelI26subtract_left_partial_tileLj256ELj4ELb1EJPxPiS1_jEEvDpT3_
		.amdhsa_group_segment_fixed_size 4096
		.amdhsa_private_segment_fixed_size 0
		.amdhsa_kernarg_size 28
		.amdhsa_user_sgpr_count 2
		.amdhsa_user_sgpr_dispatch_ptr 0
		.amdhsa_user_sgpr_queue_ptr 0
		.amdhsa_user_sgpr_kernarg_segment_ptr 1
		.amdhsa_user_sgpr_dispatch_id 0
		.amdhsa_user_sgpr_private_segment_size 0
		.amdhsa_wavefront_size32 1
		.amdhsa_uses_dynamic_stack 0
		.amdhsa_enable_private_segment 0
		.amdhsa_system_sgpr_workgroup_id_x 1
		.amdhsa_system_sgpr_workgroup_id_y 0
		.amdhsa_system_sgpr_workgroup_id_z 0
		.amdhsa_system_sgpr_workgroup_info 0
		.amdhsa_system_vgpr_workitem_id 0
		.amdhsa_next_free_vgpr 23
		.amdhsa_next_free_sgpr 12
		.amdhsa_reserve_vcc 1
		.amdhsa_float_round_mode_32 0
		.amdhsa_float_round_mode_16_64 0
		.amdhsa_float_denorm_mode_32 3
		.amdhsa_float_denorm_mode_16_64 3
		.amdhsa_fp16_overflow 0
		.amdhsa_workgroup_processor_mode 1
		.amdhsa_memory_ordered 1
		.amdhsa_forward_progress 1
		.amdhsa_inst_pref_size 6
		.amdhsa_round_robin_scheduling 0
		.amdhsa_exception_fp_ieee_invalid_op 0
		.amdhsa_exception_fp_denorm_src 0
		.amdhsa_exception_fp_ieee_div_zero 0
		.amdhsa_exception_fp_ieee_overflow 0
		.amdhsa_exception_fp_ieee_underflow 0
		.amdhsa_exception_fp_ieee_inexact 0
		.amdhsa_exception_int_div_zero 0
	.end_amdhsa_kernel
	.section	.text._Z6kernelI26subtract_left_partial_tileLj256ELj4ELb1EJPxPiS1_jEEvDpT3_,"axG",@progbits,_Z6kernelI26subtract_left_partial_tileLj256ELj4ELb1EJPxPiS1_jEEvDpT3_,comdat
.Lfunc_end170:
	.size	_Z6kernelI26subtract_left_partial_tileLj256ELj4ELb1EJPxPiS1_jEEvDpT3_, .Lfunc_end170-_Z6kernelI26subtract_left_partial_tileLj256ELj4ELb1EJPxPiS1_jEEvDpT3_
                                        ; -- End function
	.set _Z6kernelI26subtract_left_partial_tileLj256ELj4ELb1EJPxPiS1_jEEvDpT3_.num_vgpr, 23
	.set _Z6kernelI26subtract_left_partial_tileLj256ELj4ELb1EJPxPiS1_jEEvDpT3_.num_agpr, 0
	.set _Z6kernelI26subtract_left_partial_tileLj256ELj4ELb1EJPxPiS1_jEEvDpT3_.numbered_sgpr, 12
	.set _Z6kernelI26subtract_left_partial_tileLj256ELj4ELb1EJPxPiS1_jEEvDpT3_.num_named_barrier, 0
	.set _Z6kernelI26subtract_left_partial_tileLj256ELj4ELb1EJPxPiS1_jEEvDpT3_.private_seg_size, 0
	.set _Z6kernelI26subtract_left_partial_tileLj256ELj4ELb1EJPxPiS1_jEEvDpT3_.uses_vcc, 1
	.set _Z6kernelI26subtract_left_partial_tileLj256ELj4ELb1EJPxPiS1_jEEvDpT3_.uses_flat_scratch, 0
	.set _Z6kernelI26subtract_left_partial_tileLj256ELj4ELb1EJPxPiS1_jEEvDpT3_.has_dyn_sized_stack, 0
	.set _Z6kernelI26subtract_left_partial_tileLj256ELj4ELb1EJPxPiS1_jEEvDpT3_.has_recursion, 0
	.set _Z6kernelI26subtract_left_partial_tileLj256ELj4ELb1EJPxPiS1_jEEvDpT3_.has_indirect_call, 0
	.section	.AMDGPU.csdata,"",@progbits
; Kernel info:
; codeLenInByte = 716
; TotalNumSgprs: 14
; NumVgprs: 23
; ScratchSize: 0
; MemoryBound: 0
; FloatMode: 240
; IeeeMode: 1
; LDSByteSize: 4096 bytes/workgroup (compile time only)
; SGPRBlocks: 0
; VGPRBlocks: 2
; NumSGPRsForWavesPerEU: 14
; NumVGPRsForWavesPerEU: 23
; Occupancy: 16
; WaveLimiterHint : 1
; COMPUTE_PGM_RSRC2:SCRATCH_EN: 0
; COMPUTE_PGM_RSRC2:USER_SGPR: 2
; COMPUTE_PGM_RSRC2:TRAP_HANDLER: 0
; COMPUTE_PGM_RSRC2:TGID_X_EN: 1
; COMPUTE_PGM_RSRC2:TGID_Y_EN: 0
; COMPUTE_PGM_RSRC2:TGID_Z_EN: 0
; COMPUTE_PGM_RSRC2:TIDIG_COMP_CNT: 0
	.section	.text._Z6kernelI26subtract_left_partial_tileLj256ELj8ELb1EJPxPiS1_jEEvDpT3_,"axG",@progbits,_Z6kernelI26subtract_left_partial_tileLj256ELj8ELb1EJPxPiS1_jEEvDpT3_,comdat
	.protected	_Z6kernelI26subtract_left_partial_tileLj256ELj8ELb1EJPxPiS1_jEEvDpT3_ ; -- Begin function _Z6kernelI26subtract_left_partial_tileLj256ELj8ELb1EJPxPiS1_jEEvDpT3_
	.globl	_Z6kernelI26subtract_left_partial_tileLj256ELj8ELb1EJPxPiS1_jEEvDpT3_
	.p2align	8
	.type	_Z6kernelI26subtract_left_partial_tileLj256ELj8ELb1EJPxPiS1_jEEvDpT3_,@function
_Z6kernelI26subtract_left_partial_tileLj256ELj8ELb1EJPxPiS1_jEEvDpT3_: ; @_Z6kernelI26subtract_left_partial_tileLj256ELj8ELb1EJPxPiS1_jEEvDpT3_
; %bb.0:
	s_clause 0x1
	s_load_b128 s[12:15], s[0:1], 0x0
	s_load_b96 s[4:6], s[0:1], 0x10
	s_lshl_b32 s2, ttmp9, 11
	s_mov_b32 s3, 0
	v_lshlrev_b32_e32 v19, 3, v0
	s_lshl_b64 s[8:9], s[2:3], 3
	s_mov_b32 s2, ttmp9
	v_cmp_ne_u32_e32 vcc_lo, 0, v0
	s_delay_alu instid0(VALU_DEP_2)
	v_or_b32_e32 v20, 7, v19
	v_or_b32_e32 v21, 6, v19
	;; [unrolled: 1-line block ×7, first 2 shown]
	v_add_nc_u32_e32 v27, -8, v19
	s_wait_kmcnt 0x0
	s_add_nc_u64 s[0:1], s[12:13], s[8:9]
	s_clause 0x7
	global_load_b64 v[13:14], v19, s[0:1]
	global_load_b64 v[11:12], v19, s[0:1] offset:2048
	global_load_b64 v[9:10], v19, s[0:1] offset:4096
	;; [unrolled: 1-line block ×7, first 2 shown]
	s_cvt_f32_u32 s0, s6
	s_sub_co_i32 s1, 0, s6
	s_delay_alu instid0(SALU_CYCLE_2) | instskip(NEXT) | instid1(TRANS32_DEP_1)
	v_rcp_iflag_f32_e32 v17, s0
	v_readfirstlane_b32 s0, v17
	s_mul_f32 s0, s0, 0x4f7ffffe
	s_wait_alu 0xfffe
	s_delay_alu instid0(SALU_CYCLE_2) | instskip(SKIP_1) | instid1(SALU_CYCLE_2)
	s_cvt_u32_f32 s0, s0
	s_wait_alu 0xfffe
	s_mul_i32 s1, s1, s0
	s_wait_alu 0xfffe
	s_mul_hi_u32 s1, s0, s1
	s_wait_alu 0xfffe
	s_add_co_i32 s7, s0, s1
	s_lshl_b64 s[0:1], s[2:3], 2
	s_lshr_b32 s2, s7, 21
	s_wait_alu 0xfffe
	s_add_nc_u64 s[0:1], s[14:15], s[0:1]
	s_mul_i32 s7, s2, s6
	s_load_b32 s3, s[0:1], 0x0
	s_sub_co_i32 s0, 0x800, s7
	s_add_co_i32 s1, s2, 1
	s_wait_alu 0xfffe
	s_sub_co_i32 s7, s0, s6
	s_cmp_ge_u32 s0, s6
	s_cselect_b32 s1, s1, s2
	s_cselect_b32 s0, s7, s0
	s_wait_alu 0xfffe
	s_add_co_i32 s2, s1, 1
	s_cmp_ge_u32 s0, s6
	s_cselect_b32 s7, s2, s1
	s_delay_alu instid0(SALU_CYCLE_1)
	s_add_co_i32 s7, s7, 1
	s_branch .LBB171_2
.LBB171_1:                              ;   in Loop: Header=BB171_2 Depth=1
	s_wait_alu 0xfffe
	s_or_b32 exec_lo, exec_lo, s0
	s_wait_kmcnt 0x0
	v_cmp_gt_u32_e64 s0, s3, v20
	v_cmp_gt_u32_e64 s1, s3, v21
	s_add_co_i32 s6, s6, -1
	s_wait_loadcnt_dscnt 0x0
	s_barrier_signal -1
	s_wait_alu 0xf1ff
	v_cndmask_b32_e64 v29, 0, v1, s0
	v_cndmask_b32_e64 v28, 0, v2, s0
	;; [unrolled: 1-line block ×3, first 2 shown]
	v_cmp_gt_u32_e64 s0, s3, v22
	v_cndmask_b32_e64 v31, 0, v3, s1
	v_sub_co_u32 v29, s1, v15, v29
	s_wait_alu 0xf1ff
	v_sub_co_ci_u32_e64 v28, null, v16, v28, s1
	v_cmp_gt_u32_e64 s1, s3, v23
	v_cndmask_b32_e64 v32, 0, v6, s0
	v_cndmask_b32_e64 v33, 0, v5, s0
	v_cmp_gt_u32_e64 s0, s3, v24
	v_sub_co_u32 v31, s2, v1, v31
	s_wait_alu 0xf1ff
	v_cndmask_b32_e64 v35, 0, v7, s1
	v_cndmask_b32_e64 v34, 0, v8, s1
	;; [unrolled: 1-line block ×4, first 2 shown]
	v_sub_co_u32 v33, s1, v3, v33
	v_sub_co_u32 v35, s0, v5, v35
	s_wait_alu 0xf1ff
	v_sub_co_ci_u32_e64 v34, null, v6, v34, s0
	v_cmp_gt_u32_e64 s0, s3, v25
	v_sub_co_ci_u32_e64 v32, null, v4, v32, s1
	v_sub_co_u32 v37, s1, v7, v37
	s_wait_alu 0xf1ff
	v_sub_co_ci_u32_e64 v36, null, v8, v36, s1
	v_cmp_gt_u32_e64 s1, s3, v19
	v_cndmask_b32_e64 v38, 0, v12, s0
	v_cndmask_b32_e64 v39, 0, v11, s0
	v_cmp_gt_u32_e64 s0, s3, v26
	v_sub_co_ci_u32_e64 v30, null, v2, v30, s2
	s_wait_alu 0xf1ff
	v_cndmask_b32_e64 v17, 0, v17, s1
	v_cndmask_b32_e64 v18, 0, v18, s1
	;; [unrolled: 1-line block ×4, first 2 shown]
	v_sub_co_u32 v39, s1, v9, v39
	v_sub_co_u32 v17, s0, v13, v17
	s_wait_alu 0xf1ff
	v_sub_co_ci_u32_e64 v18, null, v14, v18, s0
	v_sub_co_u32 v41, s0, v11, v41
	s_wait_alu 0xf1ff
	v_sub_co_ci_u32_e64 v40, null, v12, v40, s0
	v_add_co_u32 v13, s0, v17, v13
	v_sub_co_ci_u32_e64 v38, null, v10, v38, s1
	s_wait_alu 0xf1ff
	v_add_co_ci_u32_e64 v14, null, v18, v14, s0
	v_add_co_u32 v11, s0, v41, v11
	s_wait_alu 0xf1ff
	v_add_co_ci_u32_e64 v12, null, v40, v12, s0
	v_add_co_u32 v9, s0, v39, v9
	;; [unrolled: 3-line block ×7, first 2 shown]
	s_add_co_i32 s1, s7, s3
	v_add_co_ci_u32_e64 v16, null, v28, v16, s0
	s_wait_alu 0xfffe
	s_and_b32 s3, s1, 0x7ff
	s_cmp_lg_u32 s6, 0
	s_barrier_wait -1
	global_inv scope:SCOPE_SE
	s_cbranch_scc0 .LBB171_4
.LBB171_2:                              ; =>This Inner Loop Header: Depth=1
	v_mov_b32_e32 v17, 0x7b
	v_mov_b32_e32 v18, 0
	s_wait_loadcnt 0x0
	ds_store_b64 v19, v[15:16]
	s_wait_dscnt 0x0
	s_barrier_signal -1
	s_barrier_wait -1
	global_inv scope:SCOPE_SE
	s_and_saveexec_b32 s0, vcc_lo
	s_cbranch_execz .LBB171_1
; %bb.3:                                ;   in Loop: Header=BB171_2 Depth=1
	ds_load_b64 v[17:18], v27
	s_branch .LBB171_1
.LBB171_4:
	v_lshlrev_b32_e32 v0, 3, v0
	s_add_nc_u64 s[0:1], s[4:5], s[8:9]
	s_clause 0x7
	global_store_b64 v0, v[13:14], s[0:1]
	global_store_b64 v0, v[11:12], s[0:1] offset:2048
	global_store_b64 v0, v[9:10], s[0:1] offset:4096
	;; [unrolled: 1-line block ×7, first 2 shown]
	s_endpgm
	.section	.rodata,"a",@progbits
	.p2align	6, 0x0
	.amdhsa_kernel _Z6kernelI26subtract_left_partial_tileLj256ELj8ELb1EJPxPiS1_jEEvDpT3_
		.amdhsa_group_segment_fixed_size 4096
		.amdhsa_private_segment_fixed_size 0
		.amdhsa_kernarg_size 28
		.amdhsa_user_sgpr_count 2
		.amdhsa_user_sgpr_dispatch_ptr 0
		.amdhsa_user_sgpr_queue_ptr 0
		.amdhsa_user_sgpr_kernarg_segment_ptr 1
		.amdhsa_user_sgpr_dispatch_id 0
		.amdhsa_user_sgpr_private_segment_size 0
		.amdhsa_wavefront_size32 1
		.amdhsa_uses_dynamic_stack 0
		.amdhsa_enable_private_segment 0
		.amdhsa_system_sgpr_workgroup_id_x 1
		.amdhsa_system_sgpr_workgroup_id_y 0
		.amdhsa_system_sgpr_workgroup_id_z 0
		.amdhsa_system_sgpr_workgroup_info 0
		.amdhsa_system_vgpr_workitem_id 0
		.amdhsa_next_free_vgpr 42
		.amdhsa_next_free_sgpr 16
		.amdhsa_reserve_vcc 1
		.amdhsa_float_round_mode_32 0
		.amdhsa_float_round_mode_16_64 0
		.amdhsa_float_denorm_mode_32 3
		.amdhsa_float_denorm_mode_16_64 3
		.amdhsa_fp16_overflow 0
		.amdhsa_workgroup_processor_mode 1
		.amdhsa_memory_ordered 1
		.amdhsa_forward_progress 1
		.amdhsa_inst_pref_size 9
		.amdhsa_round_robin_scheduling 0
		.amdhsa_exception_fp_ieee_invalid_op 0
		.amdhsa_exception_fp_denorm_src 0
		.amdhsa_exception_fp_ieee_div_zero 0
		.amdhsa_exception_fp_ieee_overflow 0
		.amdhsa_exception_fp_ieee_underflow 0
		.amdhsa_exception_fp_ieee_inexact 0
		.amdhsa_exception_int_div_zero 0
	.end_amdhsa_kernel
	.section	.text._Z6kernelI26subtract_left_partial_tileLj256ELj8ELb1EJPxPiS1_jEEvDpT3_,"axG",@progbits,_Z6kernelI26subtract_left_partial_tileLj256ELj8ELb1EJPxPiS1_jEEvDpT3_,comdat
.Lfunc_end171:
	.size	_Z6kernelI26subtract_left_partial_tileLj256ELj8ELb1EJPxPiS1_jEEvDpT3_, .Lfunc_end171-_Z6kernelI26subtract_left_partial_tileLj256ELj8ELb1EJPxPiS1_jEEvDpT3_
                                        ; -- End function
	.set _Z6kernelI26subtract_left_partial_tileLj256ELj8ELb1EJPxPiS1_jEEvDpT3_.num_vgpr, 42
	.set _Z6kernelI26subtract_left_partial_tileLj256ELj8ELb1EJPxPiS1_jEEvDpT3_.num_agpr, 0
	.set _Z6kernelI26subtract_left_partial_tileLj256ELj8ELb1EJPxPiS1_jEEvDpT3_.numbered_sgpr, 16
	.set _Z6kernelI26subtract_left_partial_tileLj256ELj8ELb1EJPxPiS1_jEEvDpT3_.num_named_barrier, 0
	.set _Z6kernelI26subtract_left_partial_tileLj256ELj8ELb1EJPxPiS1_jEEvDpT3_.private_seg_size, 0
	.set _Z6kernelI26subtract_left_partial_tileLj256ELj8ELb1EJPxPiS1_jEEvDpT3_.uses_vcc, 1
	.set _Z6kernelI26subtract_left_partial_tileLj256ELj8ELb1EJPxPiS1_jEEvDpT3_.uses_flat_scratch, 0
	.set _Z6kernelI26subtract_left_partial_tileLj256ELj8ELb1EJPxPiS1_jEEvDpT3_.has_dyn_sized_stack, 0
	.set _Z6kernelI26subtract_left_partial_tileLj256ELj8ELb1EJPxPiS1_jEEvDpT3_.has_recursion, 0
	.set _Z6kernelI26subtract_left_partial_tileLj256ELj8ELb1EJPxPiS1_jEEvDpT3_.has_indirect_call, 0
	.section	.AMDGPU.csdata,"",@progbits
; Kernel info:
; codeLenInByte = 1092
; TotalNumSgprs: 18
; NumVgprs: 42
; ScratchSize: 0
; MemoryBound: 0
; FloatMode: 240
; IeeeMode: 1
; LDSByteSize: 4096 bytes/workgroup (compile time only)
; SGPRBlocks: 0
; VGPRBlocks: 5
; NumSGPRsForWavesPerEU: 18
; NumVGPRsForWavesPerEU: 42
; Occupancy: 16
; WaveLimiterHint : 1
; COMPUTE_PGM_RSRC2:SCRATCH_EN: 0
; COMPUTE_PGM_RSRC2:USER_SGPR: 2
; COMPUTE_PGM_RSRC2:TRAP_HANDLER: 0
; COMPUTE_PGM_RSRC2:TGID_X_EN: 1
; COMPUTE_PGM_RSRC2:TGID_Y_EN: 0
; COMPUTE_PGM_RSRC2:TGID_Z_EN: 0
; COMPUTE_PGM_RSRC2:TIDIG_COMP_CNT: 0
	.section	.text._Z6kernelI26subtract_left_partial_tileLj256ELj16ELb1EJPxPiS1_jEEvDpT3_,"axG",@progbits,_Z6kernelI26subtract_left_partial_tileLj256ELj16ELb1EJPxPiS1_jEEvDpT3_,comdat
	.protected	_Z6kernelI26subtract_left_partial_tileLj256ELj16ELb1EJPxPiS1_jEEvDpT3_ ; -- Begin function _Z6kernelI26subtract_left_partial_tileLj256ELj16ELb1EJPxPiS1_jEEvDpT3_
	.globl	_Z6kernelI26subtract_left_partial_tileLj256ELj16ELb1EJPxPiS1_jEEvDpT3_
	.p2align	8
	.type	_Z6kernelI26subtract_left_partial_tileLj256ELj16ELb1EJPxPiS1_jEEvDpT3_,@function
_Z6kernelI26subtract_left_partial_tileLj256ELj16ELb1EJPxPiS1_jEEvDpT3_: ; @_Z6kernelI26subtract_left_partial_tileLj256ELj16ELb1EJPxPiS1_jEEvDpT3_
; %bb.0:
	s_clause 0x1
	s_load_b128 s[4:7], s[0:1], 0x0
	s_load_b96 s[8:10], s[0:1], 0x10
	s_lshl_b32 s2, ttmp9, 12
	s_mov_b32 s3, 0
	v_lshlrev_b32_e32 v35, 3, v0
	s_lshl_b64 s[12:13], s[2:3], 3
	s_mov_b32 s2, ttmp9
	v_lshlrev_b32_e32 v36, 4, v0
	v_cmp_ne_u32_e32 vcc_lo, 0, v0
	v_add_nc_u32_e32 v52, -8, v35
	s_delay_alu instid0(VALU_DEP_3)
	v_or_b32_e32 v37, 15, v36
	v_or_b32_e32 v38, 14, v36
	;; [unrolled: 1-line block ×8, first 2 shown]
	s_wait_kmcnt 0x0
	s_add_nc_u64 s[0:1], s[4:5], s[12:13]
	v_or_b32_e32 v45, 7, v36
	s_clause 0xf
	global_load_b64 v[29:30], v35, s[0:1]
	global_load_b64 v[27:28], v35, s[0:1] offset:2048
	global_load_b64 v[25:26], v35, s[0:1] offset:4096
	;; [unrolled: 1-line block ×15, first 2 shown]
	s_cvt_f32_u32 s0, s10
	s_sub_co_i32 s1, 0, s10
	v_or_b32_e32 v46, 6, v36
	v_or_b32_e32 v47, 5, v36
	v_rcp_iflag_f32_e32 v33, s0
	v_or_b32_e32 v48, 4, v36
	v_or_b32_e32 v49, 3, v36
	;; [unrolled: 1-line block ×4, first 2 shown]
	s_mov_b32 s4, s8
	s_delay_alu instid0(TRANS32_DEP_1) | instskip(SKIP_2) | instid1(SALU_CYCLE_2)
	v_readfirstlane_b32 s0, v33
	s_mul_f32 s0, s0, 0x4f7ffffe
	s_wait_alu 0xfffe
	s_cvt_u32_f32 s0, s0
	s_wait_alu 0xfffe
	s_delay_alu instid0(SALU_CYCLE_2)
	s_mul_i32 s1, s1, s0
	s_wait_alu 0xfffe
	s_mul_hi_u32 s1, s0, s1
	s_wait_alu 0xfffe
	s_add_co_i32 s5, s0, s1
	s_lshl_b64 s[0:1], s[2:3], 2
	s_lshr_b32 s2, s5, 20
	s_wait_alu 0xfffe
	s_add_nc_u64 s[0:1], s[6:7], s[0:1]
	s_mul_i32 s5, s2, s10
	s_load_b32 s3, s[0:1], 0x0
	s_sub_co_i32 s0, 0x1000, s5
	s_add_co_i32 s1, s2, 1
	s_wait_alu 0xfffe
	s_sub_co_i32 s5, s0, s10
	s_cmp_ge_u32 s0, s10
	s_cselect_b32 s1, s1, s2
	s_cselect_b32 s0, s5, s0
	s_wait_alu 0xfffe
	s_add_co_i32 s2, s1, 1
	s_cmp_ge_u32 s0, s10
	s_mov_b32 s5, s9
	s_cselect_b32 s6, s2, s1
	s_delay_alu instid0(SALU_CYCLE_1)
	s_add_co_i32 s6, s6, 1
	s_branch .LBB172_2
.LBB172_1:                              ;   in Loop: Header=BB172_2 Depth=1
	s_wait_alu 0xfffe
	s_or_b32 exec_lo, exec_lo, s0
	s_wait_kmcnt 0x0
	v_cmp_gt_u32_e64 s0, s3, v37
	v_cmp_gt_u32_e64 s1, s3, v38
	s_add_co_i32 s10, s10, -1
	s_wait_loadcnt_dscnt 0x0
	s_barrier_signal -1
	s_wait_alu 0xf1ff
	v_cndmask_b32_e64 v53, 0, v2, s0
	v_cndmask_b32_e64 v54, 0, v1, s0
	v_cmp_gt_u32_e64 s0, s3, v39
	v_cndmask_b32_e64 v56, 0, v3, s1
	v_cndmask_b32_e64 v55, 0, v4, s1
	s_barrier_wait -1
	v_sub_co_u32 v54, s1, v31, v54
	s_wait_alu 0xf1ff
	v_cndmask_b32_e64 v57, 0, v6, s0
	v_cndmask_b32_e64 v58, 0, v5, s0
	v_cmp_gt_u32_e64 s0, s3, v40
	v_sub_co_ci_u32_e64 v53, null, v32, v53, s1
	v_sub_co_u32 v56, s1, v1, v56
	s_wait_alu 0xf1ff
	s_delay_alu instid0(VALU_DEP_3)
	v_cndmask_b32_e64 v59, 0, v8, s0
	v_cndmask_b32_e64 v60, 0, v7, s0
	v_sub_co_u32 v58, s0, v3, v58
	v_sub_co_ci_u32_e64 v55, null, v2, v55, s1
	s_wait_alu 0xf1ff
	v_sub_co_ci_u32_e64 v57, null, v4, v57, s0
	v_cmp_gt_u32_e64 s0, s3, v41
	v_cmp_gt_u32_e64 s1, s3, v42
	v_sub_co_u32 v60, s2, v5, v60
	s_wait_alu 0xf1ff
	v_sub_co_ci_u32_e64 v59, null, v6, v59, s2
	v_cndmask_b32_e64 v61, 0, v10, s0
	v_cndmask_b32_e64 v62, 0, v9, s0
	;; [unrolled: 1-line block ×3, first 2 shown]
	v_cmp_gt_u32_e64 s0, s3, v43
	v_cndmask_b32_e64 v63, 0, v12, s1
	global_inv scope:SCOPE_SE
	v_sub_co_u32 v62, s1, v7, v62
	s_wait_alu 0xf1ff
	v_cndmask_b32_e64 v65, 0, v14, s0
	v_cndmask_b32_e64 v66, 0, v13, s0
	v_sub_co_u32 v64, s0, v9, v64
	v_sub_co_ci_u32_e64 v61, null, v8, v61, s1
	s_wait_alu 0xf1ff
	v_sub_co_ci_u32_e64 v63, null, v10, v63, s0
	v_cmp_gt_u32_e64 s0, s3, v44
	v_cmp_gt_u32_e64 s1, s3, v45
	v_sub_co_u32 v66, s2, v11, v66
	s_wait_alu 0xf1ff
	v_sub_co_ci_u32_e64 v65, null, v12, v65, s2
	v_cndmask_b32_e64 v67, 0, v16, s0
	v_cndmask_b32_e64 v68, 0, v15, s0
	;; [unrolled: 1-line block ×3, first 2 shown]
	v_cmp_gt_u32_e64 s0, s3, v46
	v_cndmask_b32_e64 v69, 0, v18, s1
	s_delay_alu instid0(VALU_DEP_4) | instskip(SKIP_1) | instid1(VALU_DEP_3)
	v_sub_co_u32 v68, s1, v13, v68
	s_wait_alu 0xf1ff
	v_cndmask_b32_e64 v71, 0, v20, s0
	v_cndmask_b32_e64 v72, 0, v19, s0
	v_sub_co_u32 v70, s0, v15, v70
	s_wait_alu 0xf1ff
	v_sub_co_ci_u32_e64 v69, null, v16, v69, s0
	v_cmp_gt_u32_e64 s0, s3, v47
	v_sub_co_ci_u32_e64 v67, null, v14, v67, s1
	v_cmp_gt_u32_e64 s1, s3, v48
	v_sub_co_u32 v72, s2, v17, v72
	s_wait_alu 0xf1ff
	v_cndmask_b32_e64 v73, 0, v22, s0
	v_cndmask_b32_e64 v74, 0, v21, s0
	v_cmp_gt_u32_e64 s0, s3, v49
	v_cndmask_b32_e64 v76, 0, v23, s1
	v_cndmask_b32_e64 v75, 0, v24, s1
	v_sub_co_ci_u32_e64 v71, null, v18, v71, s2
	s_wait_alu 0xf1ff
	v_cndmask_b32_e64 v78, 0, v25, s0
	v_cndmask_b32_e64 v77, 0, v26, s0
	v_sub_co_u32 v76, s0, v21, v76
	v_sub_co_u32 v74, s1, v19, v74
	s_wait_alu 0xf1ff
	v_sub_co_ci_u32_e64 v75, null, v22, v75, s0
	v_cmp_gt_u32_e64 s0, s3, v50
	v_sub_co_ci_u32_e64 v73, null, v20, v73, s1
	v_sub_co_u32 v78, s1, v23, v78
	s_wait_alu 0xf1ff
	v_sub_co_ci_u32_e64 v77, null, v24, v77, s1
	v_cmp_gt_u32_e64 s1, s3, v36
	v_cndmask_b32_e64 v79, 0, v28, s0
	v_cndmask_b32_e64 v80, 0, v27, s0
	v_cmp_gt_u32_e64 s0, s3, v51
	s_wait_alu 0xf1ff
	v_cndmask_b32_e64 v33, 0, v33, s1
	v_cndmask_b32_e64 v34, 0, v34, s1
	v_sub_co_u32 v80, s1, v25, v80
	v_cndmask_b32_e64 v82, 0, v29, s0
	v_cndmask_b32_e64 v81, 0, v30, s0
	v_sub_co_u32 v33, s0, v29, v33
	s_wait_alu 0xf1ff
	v_sub_co_ci_u32_e64 v34, null, v30, v34, s0
	v_sub_co_u32 v82, s0, v27, v82
	s_wait_alu 0xf1ff
	v_sub_co_ci_u32_e64 v81, null, v28, v81, s0
	v_add_co_u32 v29, s0, v33, v29
	v_sub_co_ci_u32_e64 v79, null, v26, v79, s1
	s_wait_alu 0xf1ff
	v_add_co_ci_u32_e64 v30, null, v34, v30, s0
	v_add_co_u32 v27, s0, v82, v27
	s_wait_alu 0xf1ff
	v_add_co_ci_u32_e64 v28, null, v81, v28, s0
	v_add_co_u32 v25, s0, v80, v25
	;; [unrolled: 3-line block ×15, first 2 shown]
	s_add_co_i32 s1, s6, s3
	v_add_co_ci_u32_e64 v32, null, v53, v32, s0
	s_wait_alu 0xfffe
	s_and_b32 s3, s1, 0xfff
	s_cmp_lg_u32 s10, 0
	s_cbranch_scc0 .LBB172_4
.LBB172_2:                              ; =>This Inner Loop Header: Depth=1
	v_mov_b32_e32 v33, 0x7b
	v_mov_b32_e32 v34, 0
	s_wait_loadcnt 0x0
	ds_store_b64 v35, v[31:32]
	s_wait_dscnt 0x0
	s_barrier_signal -1
	s_barrier_wait -1
	global_inv scope:SCOPE_SE
	s_and_saveexec_b32 s0, vcc_lo
	s_cbranch_execz .LBB172_1
; %bb.3:                                ;   in Loop: Header=BB172_2 Depth=1
	ds_load_b64 v[33:34], v52
	s_branch .LBB172_1
.LBB172_4:
	v_lshlrev_b32_e32 v0, 3, v0
	s_add_nc_u64 s[0:1], s[4:5], s[12:13]
	s_clause 0xf
	global_store_b64 v0, v[29:30], s[0:1]
	global_store_b64 v0, v[27:28], s[0:1] offset:2048
	global_store_b64 v0, v[25:26], s[0:1] offset:4096
	;; [unrolled: 1-line block ×15, first 2 shown]
	s_endpgm
	.section	.rodata,"a",@progbits
	.p2align	6, 0x0
	.amdhsa_kernel _Z6kernelI26subtract_left_partial_tileLj256ELj16ELb1EJPxPiS1_jEEvDpT3_
		.amdhsa_group_segment_fixed_size 4096
		.amdhsa_private_segment_fixed_size 0
		.amdhsa_kernarg_size 28
		.amdhsa_user_sgpr_count 2
		.amdhsa_user_sgpr_dispatch_ptr 0
		.amdhsa_user_sgpr_queue_ptr 0
		.amdhsa_user_sgpr_kernarg_segment_ptr 1
		.amdhsa_user_sgpr_dispatch_id 0
		.amdhsa_user_sgpr_private_segment_size 0
		.amdhsa_wavefront_size32 1
		.amdhsa_uses_dynamic_stack 0
		.amdhsa_enable_private_segment 0
		.amdhsa_system_sgpr_workgroup_id_x 1
		.amdhsa_system_sgpr_workgroup_id_y 0
		.amdhsa_system_sgpr_workgroup_id_z 0
		.amdhsa_system_sgpr_workgroup_info 0
		.amdhsa_system_vgpr_workitem_id 0
		.amdhsa_next_free_vgpr 83
		.amdhsa_next_free_sgpr 14
		.amdhsa_reserve_vcc 1
		.amdhsa_float_round_mode_32 0
		.amdhsa_float_round_mode_16_64 0
		.amdhsa_float_denorm_mode_32 3
		.amdhsa_float_denorm_mode_16_64 3
		.amdhsa_fp16_overflow 0
		.amdhsa_workgroup_processor_mode 1
		.amdhsa_memory_ordered 1
		.amdhsa_forward_progress 1
		.amdhsa_inst_pref_size 15
		.amdhsa_round_robin_scheduling 0
		.amdhsa_exception_fp_ieee_invalid_op 0
		.amdhsa_exception_fp_denorm_src 0
		.amdhsa_exception_fp_ieee_div_zero 0
		.amdhsa_exception_fp_ieee_overflow 0
		.amdhsa_exception_fp_ieee_underflow 0
		.amdhsa_exception_fp_ieee_inexact 0
		.amdhsa_exception_int_div_zero 0
	.end_amdhsa_kernel
	.section	.text._Z6kernelI26subtract_left_partial_tileLj256ELj16ELb1EJPxPiS1_jEEvDpT3_,"axG",@progbits,_Z6kernelI26subtract_left_partial_tileLj256ELj16ELb1EJPxPiS1_jEEvDpT3_,comdat
.Lfunc_end172:
	.size	_Z6kernelI26subtract_left_partial_tileLj256ELj16ELb1EJPxPiS1_jEEvDpT3_, .Lfunc_end172-_Z6kernelI26subtract_left_partial_tileLj256ELj16ELb1EJPxPiS1_jEEvDpT3_
                                        ; -- End function
	.set _Z6kernelI26subtract_left_partial_tileLj256ELj16ELb1EJPxPiS1_jEEvDpT3_.num_vgpr, 83
	.set _Z6kernelI26subtract_left_partial_tileLj256ELj16ELb1EJPxPiS1_jEEvDpT3_.num_agpr, 0
	.set _Z6kernelI26subtract_left_partial_tileLj256ELj16ELb1EJPxPiS1_jEEvDpT3_.numbered_sgpr, 14
	.set _Z6kernelI26subtract_left_partial_tileLj256ELj16ELb1EJPxPiS1_jEEvDpT3_.num_named_barrier, 0
	.set _Z6kernelI26subtract_left_partial_tileLj256ELj16ELb1EJPxPiS1_jEEvDpT3_.private_seg_size, 0
	.set _Z6kernelI26subtract_left_partial_tileLj256ELj16ELb1EJPxPiS1_jEEvDpT3_.uses_vcc, 1
	.set _Z6kernelI26subtract_left_partial_tileLj256ELj16ELb1EJPxPiS1_jEEvDpT3_.uses_flat_scratch, 0
	.set _Z6kernelI26subtract_left_partial_tileLj256ELj16ELb1EJPxPiS1_jEEvDpT3_.has_dyn_sized_stack, 0
	.set _Z6kernelI26subtract_left_partial_tileLj256ELj16ELb1EJPxPiS1_jEEvDpT3_.has_recursion, 0
	.set _Z6kernelI26subtract_left_partial_tileLj256ELj16ELb1EJPxPiS1_jEEvDpT3_.has_indirect_call, 0
	.section	.AMDGPU.csdata,"",@progbits
; Kernel info:
; codeLenInByte = 1852
; TotalNumSgprs: 16
; NumVgprs: 83
; ScratchSize: 0
; MemoryBound: 0
; FloatMode: 240
; IeeeMode: 1
; LDSByteSize: 4096 bytes/workgroup (compile time only)
; SGPRBlocks: 0
; VGPRBlocks: 10
; NumSGPRsForWavesPerEU: 16
; NumVGPRsForWavesPerEU: 83
; Occupancy: 16
; WaveLimiterHint : 1
; COMPUTE_PGM_RSRC2:SCRATCH_EN: 0
; COMPUTE_PGM_RSRC2:USER_SGPR: 2
; COMPUTE_PGM_RSRC2:TRAP_HANDLER: 0
; COMPUTE_PGM_RSRC2:TGID_X_EN: 1
; COMPUTE_PGM_RSRC2:TGID_Y_EN: 0
; COMPUTE_PGM_RSRC2:TGID_Z_EN: 0
; COMPUTE_PGM_RSRC2:TIDIG_COMP_CNT: 0
	.section	.text._Z6kernelI26subtract_left_partial_tileLj256ELj32ELb1EJPxPiS1_jEEvDpT3_,"axG",@progbits,_Z6kernelI26subtract_left_partial_tileLj256ELj32ELb1EJPxPiS1_jEEvDpT3_,comdat
	.protected	_Z6kernelI26subtract_left_partial_tileLj256ELj32ELb1EJPxPiS1_jEEvDpT3_ ; -- Begin function _Z6kernelI26subtract_left_partial_tileLj256ELj32ELb1EJPxPiS1_jEEvDpT3_
	.globl	_Z6kernelI26subtract_left_partial_tileLj256ELj32ELb1EJPxPiS1_jEEvDpT3_
	.p2align	8
	.type	_Z6kernelI26subtract_left_partial_tileLj256ELj32ELb1EJPxPiS1_jEEvDpT3_,@function
_Z6kernelI26subtract_left_partial_tileLj256ELj32ELb1EJPxPiS1_jEEvDpT3_: ; @_Z6kernelI26subtract_left_partial_tileLj256ELj32ELb1EJPxPiS1_jEEvDpT3_
; %bb.0:
	s_clause 0x1
	s_load_b128 s[4:7], s[0:1], 0x0
	s_load_b96 s[8:10], s[0:1], 0x10
	s_lshl_b32 s2, ttmp9, 13
	s_mov_b32 s3, 0
	v_lshlrev_b32_e32 v67, 3, v0
	s_lshl_b64 s[12:13], s[2:3], 3
	s_mov_b32 s2, ttmp9
	v_lshlrev_b32_e32 v68, 5, v0
	v_cmp_ne_u32_e32 vcc_lo, 0, v0
	v_add_nc_u32_e32 v76, -8, v67
	s_delay_alu instid0(VALU_DEP_3)
	v_or_b32_e32 v69, 7, v68
	v_or_b32_e32 v70, 6, v68
	;; [unrolled: 1-line block ×7, first 2 shown]
	s_wait_kmcnt 0x0
	s_add_nc_u64 s[0:1], s[4:5], s[12:13]
	s_clause 0x1f
	global_load_b64 v[61:62], v67, s[0:1]
	global_load_b64 v[59:60], v67, s[0:1] offset:2048
	global_load_b64 v[57:58], v67, s[0:1] offset:4096
	;; [unrolled: 1-line block ×31, first 2 shown]
	s_cvt_f32_u32 s0, s10
	s_sub_co_i32 s1, 0, s10
	s_delay_alu instid0(SALU_CYCLE_2) | instskip(NEXT) | instid1(TRANS32_DEP_1)
	v_rcp_iflag_f32_e32 v65, s0
	v_readfirstlane_b32 s0, v65
	s_mul_f32 s0, s0, 0x4f7ffffe
	s_wait_alu 0xfffe
	s_delay_alu instid0(SALU_CYCLE_2) | instskip(SKIP_1) | instid1(SALU_CYCLE_2)
	s_cvt_u32_f32 s0, s0
	s_wait_alu 0xfffe
	s_mul_i32 s1, s1, s0
	s_wait_alu 0xfffe
	s_mul_hi_u32 s1, s0, s1
	s_wait_alu 0xfffe
	s_add_co_i32 s0, s0, s1
	s_wait_alu 0xfffe
	s_lshr_b32 s4, s0, 19
	s_lshl_b64 s[0:1], s[2:3], 2
	s_mul_i32 s5, s4, s10
	s_wait_alu 0xfffe
	s_add_nc_u64 s[0:1], s[6:7], s[0:1]
	s_sub_co_i32 s2, 0x2000, s5
	s_load_b32 s5, s[0:1], 0x0
	s_add_co_i32 s3, s4, 1
	s_sub_co_i32 s7, s2, s10
	s_cmp_ge_u32 s2, s10
	s_mov_b32 s6, s8
	s_cselect_b32 s0, s3, s4
	s_cselect_b32 s1, s7, s2
	s_wait_alu 0xfffe
	s_add_co_i32 s2, s0, 1
	s_cmp_ge_u32 s1, s10
	s_mov_b32 s7, s9
	s_cselect_b32 s8, s2, s0
	s_delay_alu instid0(SALU_CYCLE_1)
	s_add_co_i32 s8, s8, 1
	s_branch .LBB173_2
.LBB173_1:                              ;   in Loop: Header=BB173_2 Depth=1
	s_wait_alu 0xfffe
	s_or_b32 exec_lo, exec_lo, s0
	v_or_b32_e32 v77, 31, v68
	v_or_b32_e32 v78, 30, v68
	;; [unrolled: 1-line block ×5, first 2 shown]
	s_wait_kmcnt 0x0
	v_cmp_gt_u32_e64 s0, s5, v77
	v_or_b32_e32 v77, 28, v68
	v_cmp_gt_u32_e64 s1, s5, v78
	v_or_b32_e32 v92, 23, v68
	v_or_b32_e32 v91, 24, v68
	s_wait_alu 0xf1ff
	v_cndmask_b32_e64 v81, 0, v1, s0
	v_cndmask_b32_e64 v80, 0, v2, s0
	;; [unrolled: 1-line block ×3, first 2 shown]
	v_cmp_gt_u32_e64 s0, s5, v79
	v_cmp_gt_u32_e64 s2, s5, v77
	v_cndmask_b32_e64 v77, 0, v3, s1
	v_sub_co_u32 v79, s1, v63, v81
	v_or_b32_e32 v81, 27, v68
	s_wait_alu 0xf1ff
	v_cndmask_b32_e64 v82, 0, v6, s0
	v_cndmask_b32_e64 v83, 0, v5, s0
	;; [unrolled: 1-line block ×4, first 2 shown]
	v_cmp_gt_u32_e64 s0, s5, v81
	v_sub_co_ci_u32_e64 v80, null, v64, v80, s1
	v_sub_co_u32 v77, s1, v1, v77
	s_wait_alu 0xf1ff
	v_sub_co_ci_u32_e64 v78, null, v2, v78, s1
	v_sub_co_u32 v81, s1, v3, v83
	v_cndmask_b32_e64 v83, 0, v10, s0
	v_cndmask_b32_e64 v86, 0, v9, s0
	v_sub_co_u32 v85, s0, v5, v85
	s_wait_alu 0xf1ff
	v_sub_co_ci_u32_e64 v84, null, v6, v84, s0
	v_cmp_gt_u32_e64 s0, s5, v87
	v_sub_co_ci_u32_e64 v82, null, v4, v82, s1
	v_cmp_gt_u32_e64 s1, s5, v88
	v_sub_co_u32 v86, s2, v7, v86
	s_wait_alu 0xf1ff
	v_cndmask_b32_e64 v88, 0, v11, s0
	v_cndmask_b32_e64 v87, 0, v12, s0
	v_sub_co_ci_u32_e64 v83, null, v8, v83, s2
	v_cmp_gt_u32_e64 s2, s5, v75
	s_delay_alu instid0(VALU_DEP_4)
	v_sub_co_u32 v88, s0, v9, v88
	s_wait_alu 0xf1ff
	v_sub_co_ci_u32_e64 v87, null, v10, v87, s0
	v_cmp_gt_u32_e64 s0, s5, v68
	v_cndmask_b32_e64 v93, 0, v61, s2
	v_cndmask_b32_e64 v89, 0, v14, s1
	;; [unrolled: 1-line block ×3, first 2 shown]
	v_cmp_gt_u32_e64 s1, s5, v91
	s_wait_dscnt 0x0
	s_wait_alu 0xf1ff
	v_cndmask_b32_e64 v65, 0, v65, s0
	v_cndmask_b32_e64 v66, 0, v66, s0
	v_cmp_gt_u32_e64 s0, s5, v92
	v_cndmask_b32_e64 v92, 0, v62, s2
	v_cndmask_b32_e64 v91, 0, v16, s1
	v_sub_co_u32 v65, s2, v61, v65
	s_wait_alu 0xf1ff
	v_sub_co_ci_u32_e64 v66, null, v62, v66, s2
	v_cmp_gt_u32_e64 s2, s5, v74
	s_delay_alu instid0(VALU_DEP_3) | instskip(SKIP_1) | instid1(VALU_DEP_3)
	v_add_co_u32 v61, s3, v65, v61
	s_wait_alu 0xf1ff
	v_add_co_ci_u32_e64 v62, null, v66, v62, s3
	s_delay_alu instid0(VALU_DEP_3)
	v_cndmask_b32_e64 v94, 0, v60, s2
	v_cndmask_b32_e64 v65, 0, v59, s2
	v_sub_co_u32 v66, s2, v59, v93
	s_wait_alu 0xf1ff
	v_sub_co_ci_u32_e64 v92, null, v60, v92, s2
	v_cmp_gt_u32_e64 s2, s5, v73
	s_delay_alu instid0(VALU_DEP_3) | instskip(SKIP_1) | instid1(VALU_DEP_3)
	v_add_co_u32 v59, s3, v66, v59
	s_wait_alu 0xf1ff
	v_add_co_ci_u32_e64 v60, null, v92, v60, s3
	s_delay_alu instid0(VALU_DEP_3)
	;; [unrolled: 11-line block ×6, first 2 shown]
	v_cndmask_b32_e64 v93, 0, v50, s2
	v_cndmask_b32_e64 v66, 0, v49, s2
	v_or_b32_e32 v92, 8, v68
	v_sub_co_u32 v65, s2, v49, v65
	s_wait_alu 0xf1ff
	v_sub_co_ci_u32_e64 v94, null, v50, v94, s2
	s_delay_alu instid0(VALU_DEP_3) | instskip(NEXT) | instid1(VALU_DEP_3)
	v_cmp_gt_u32_e64 s2, s5, v92
	v_add_co_u32 v49, s3, v65, v49
	s_wait_alu 0xf1ff
	s_delay_alu instid0(VALU_DEP_3)
	v_add_co_ci_u32_e64 v50, null, v94, v50, s3
	v_or_b32_e32 v94, 9, v68
	v_cndmask_b32_e64 v92, 0, v48, s2
	v_cndmask_b32_e64 v65, 0, v47, s2
	v_sub_co_u32 v66, s2, v47, v66
	s_wait_alu 0xf1ff
	v_sub_co_ci_u32_e64 v93, null, v48, v93, s2
	v_cmp_gt_u32_e64 s2, s5, v94
	s_delay_alu instid0(VALU_DEP_3) | instskip(SKIP_1) | instid1(VALU_DEP_3)
	v_add_co_u32 v47, s3, v66, v47
	s_wait_alu 0xf1ff
	v_add_co_ci_u32_e64 v48, null, v93, v48, s3
	s_delay_alu instid0(VALU_DEP_3)
	v_cndmask_b32_e64 v94, 0, v46, s2
	v_cndmask_b32_e64 v66, 0, v45, s2
	v_or_b32_e32 v93, 10, v68
	v_sub_co_u32 v65, s2, v45, v65
	s_wait_alu 0xf1ff
	v_sub_co_ci_u32_e64 v92, null, v46, v92, s2
	s_delay_alu instid0(VALU_DEP_3) | instskip(NEXT) | instid1(VALU_DEP_3)
	v_cmp_gt_u32_e64 s2, s5, v93
	v_add_co_u32 v45, s3, v65, v45
	s_wait_alu 0xf1ff
	s_delay_alu instid0(VALU_DEP_3)
	v_add_co_ci_u32_e64 v46, null, v92, v46, s3
	v_or_b32_e32 v92, 11, v68
	v_cndmask_b32_e64 v93, 0, v44, s2
	v_cndmask_b32_e64 v65, 0, v43, s2
	v_sub_co_u32 v66, s2, v43, v66
	s_wait_alu 0xf1ff
	v_sub_co_ci_u32_e64 v94, null, v44, v94, s2
	v_cmp_gt_u32_e64 s2, s5, v92
	s_delay_alu instid0(VALU_DEP_3) | instskip(SKIP_1) | instid1(VALU_DEP_3)
	v_add_co_u32 v43, s3, v66, v43
	s_wait_alu 0xf1ff
	v_add_co_ci_u32_e64 v44, null, v94, v44, s3
	s_delay_alu instid0(VALU_DEP_3)
	;; [unrolled: 24-line block ×5, first 2 shown]
	v_cndmask_b32_e64 v92, 0, v30, s2
	v_cndmask_b32_e64 v66, 0, v29, s2
	v_or_b32_e32 v94, 18, v68
	v_sub_co_u32 v65, s2, v29, v65
	s_wait_alu 0xf1ff
	v_sub_co_ci_u32_e64 v93, null, v30, v93, s2
	s_delay_alu instid0(VALU_DEP_3) | instskip(NEXT) | instid1(VALU_DEP_3)
	v_cmp_gt_u32_e64 s2, s5, v94
	v_add_co_u32 v29, s3, v65, v29
	s_wait_alu 0xf1ff
	s_delay_alu instid0(VALU_DEP_3)
	v_add_co_ci_u32_e64 v30, null, v93, v30, s3
	v_or_b32_e32 v93, 19, v68
	v_cndmask_b32_e64 v94, 0, v28, s2
	v_cndmask_b32_e64 v65, 0, v27, s2
	v_sub_co_u32 v66, s2, v27, v66
	s_wait_alu 0xf1ff
	v_sub_co_ci_u32_e64 v92, null, v28, v92, s2
	v_cmp_gt_u32_e64 s2, s5, v93
	s_delay_alu instid0(VALU_DEP_3)
	v_add_co_u32 v27, s4, v66, v27
	v_sub_co_u32 v65, s3, v25, v65
	s_wait_alu 0xf1ff
	v_add_co_ci_u32_e64 v28, null, v92, v28, s4
	v_cndmask_b32_e64 v66, 0, v25, s2
	v_or_b32_e32 v92, 20, v68
	v_cndmask_b32_e64 v93, 0, v26, s2
	v_sub_co_ci_u32_e64 v94, null, v26, v94, s3
	v_add_co_u32 v25, s2, v65, v25
	v_cndmask_b32_e64 v65, 0, v15, s1
	v_cmp_gt_u32_e64 s1, s5, v92
	v_sub_co_u32 v66, s3, v23, v66
	s_wait_alu 0xf1ff
	v_add_co_ci_u32_e64 v26, null, v94, v26, s2
	s_delay_alu instid0(VALU_DEP_3)
	v_cndmask_b32_e64 v92, 0, v24, s1
	v_cndmask_b32_e64 v94, 0, v23, s1
	v_add_co_u32 v23, s1, v66, v23
	v_or_b32_e32 v66, 21, v68
	v_sub_co_u32 v90, s2, v11, v90
	v_sub_co_ci_u32_e64 v93, null, v24, v93, s3
	s_wait_alu 0xf1ff
	v_sub_co_ci_u32_e64 v89, null, v12, v89, s2
	v_cmp_gt_u32_e64 s2, s5, v66
	v_sub_co_u32 v94, s3, v21, v94
	v_add_co_ci_u32_e64 v24, null, v93, v24, s1
	s_wait_alu 0xf1ff
	s_delay_alu instid0(VALU_DEP_3) | instskip(NEXT) | instid1(VALU_DEP_3)
	v_cndmask_b32_e64 v93, 0, v21, s2
	v_add_co_u32 v21, s1, v94, v21
	v_or_b32_e32 v94, 22, v68
	v_cndmask_b32_e64 v66, 0, v22, s2
	v_sub_co_u32 v65, s2, v13, v65
	v_sub_co_ci_u32_e64 v92, null, v22, v92, s3
	s_wait_alu 0xf1ff
	v_sub_co_ci_u32_e64 v91, null, v14, v91, s2
	v_cmp_gt_u32_e64 s2, s5, v94
	v_sub_co_u32 v93, s3, v19, v93
	s_wait_alu 0xf1ff
	v_sub_co_ci_u32_e64 v66, null, v20, v66, s3
	v_add_co_ci_u32_e64 v22, null, v92, v22, s1
	v_cndmask_b32_e64 v92, 0, v19, s2
	v_add_co_u32 v19, s1, v93, v19
	v_cndmask_b32_e64 v94, 0, v20, s2
	s_wait_alu 0xf1ff
	v_add_co_ci_u32_e64 v20, null, v66, v20, s1
	v_cndmask_b32_e64 v66, 0, v17, s0
	v_cndmask_b32_e64 v93, 0, v18, s0
	v_sub_co_u32 v92, s0, v17, v92
	s_wait_alu 0xf1ff
	v_sub_co_ci_u32_e64 v94, null, v18, v94, s0
	v_sub_co_u32 v66, s0, v15, v66
	s_wait_alu 0xf1ff
	v_sub_co_ci_u32_e64 v93, null, v16, v93, s0
	v_add_co_u32 v17, s0, v92, v17
	s_wait_alu 0xf1ff
	v_add_co_ci_u32_e64 v18, null, v94, v18, s0
	v_add_co_u32 v15, s0, v66, v15
	s_wait_alu 0xf1ff
	v_add_co_ci_u32_e64 v16, null, v93, v16, s0
	;; [unrolled: 3-line block ×9, first 2 shown]
	v_add_co_u32 v63, s0, v79, v63
	s_add_co_i32 s1, s8, s5
	v_add_co_ci_u32_e64 v64, null, v80, v64, s0
	s_add_co_i32 s10, s10, -1
	s_wait_alu 0xfffe
	s_and_b32 s5, s1, 0x1fff
	s_cmp_lg_u32 s10, 0
	s_wait_loadcnt 0x0
	s_barrier_signal -1
	s_barrier_wait -1
	global_inv scope:SCOPE_SE
	s_cbranch_scc0 .LBB173_4
.LBB173_2:                              ; =>This Inner Loop Header: Depth=1
	v_mov_b32_e32 v65, 0x7b
	v_mov_b32_e32 v66, 0
	s_wait_loadcnt 0x0
	ds_store_b64 v67, v[63:64]
	s_wait_dscnt 0x0
	s_barrier_signal -1
	s_barrier_wait -1
	global_inv scope:SCOPE_SE
	s_and_saveexec_b32 s0, vcc_lo
	s_cbranch_execz .LBB173_1
; %bb.3:                                ;   in Loop: Header=BB173_2 Depth=1
	ds_load_b64 v[65:66], v76
	s_branch .LBB173_1
.LBB173_4:
	v_lshlrev_b32_e32 v0, 3, v0
	s_add_nc_u64 s[0:1], s[6:7], s[12:13]
	s_clause 0x1f
	global_store_b64 v0, v[61:62], s[0:1]
	global_store_b64 v0, v[59:60], s[0:1] offset:2048
	global_store_b64 v0, v[57:58], s[0:1] offset:4096
	;; [unrolled: 1-line block ×31, first 2 shown]
	s_endpgm
	.section	.rodata,"a",@progbits
	.p2align	6, 0x0
	.amdhsa_kernel _Z6kernelI26subtract_left_partial_tileLj256ELj32ELb1EJPxPiS1_jEEvDpT3_
		.amdhsa_group_segment_fixed_size 4096
		.amdhsa_private_segment_fixed_size 0
		.amdhsa_kernarg_size 28
		.amdhsa_user_sgpr_count 2
		.amdhsa_user_sgpr_dispatch_ptr 0
		.amdhsa_user_sgpr_queue_ptr 0
		.amdhsa_user_sgpr_kernarg_segment_ptr 1
		.amdhsa_user_sgpr_dispatch_id 0
		.amdhsa_user_sgpr_private_segment_size 0
		.amdhsa_wavefront_size32 1
		.amdhsa_uses_dynamic_stack 0
		.amdhsa_enable_private_segment 0
		.amdhsa_system_sgpr_workgroup_id_x 1
		.amdhsa_system_sgpr_workgroup_id_y 0
		.amdhsa_system_sgpr_workgroup_id_z 0
		.amdhsa_system_sgpr_workgroup_info 0
		.amdhsa_system_vgpr_workitem_id 0
		.amdhsa_next_free_vgpr 95
		.amdhsa_next_free_sgpr 14
		.amdhsa_reserve_vcc 1
		.amdhsa_float_round_mode_32 0
		.amdhsa_float_round_mode_16_64 0
		.amdhsa_float_denorm_mode_32 3
		.amdhsa_float_denorm_mode_16_64 3
		.amdhsa_fp16_overflow 0
		.amdhsa_workgroup_processor_mode 1
		.amdhsa_memory_ordered 1
		.amdhsa_forward_progress 1
		.amdhsa_inst_pref_size 27
		.amdhsa_round_robin_scheduling 0
		.amdhsa_exception_fp_ieee_invalid_op 0
		.amdhsa_exception_fp_denorm_src 0
		.amdhsa_exception_fp_ieee_div_zero 0
		.amdhsa_exception_fp_ieee_overflow 0
		.amdhsa_exception_fp_ieee_underflow 0
		.amdhsa_exception_fp_ieee_inexact 0
		.amdhsa_exception_int_div_zero 0
	.end_amdhsa_kernel
	.section	.text._Z6kernelI26subtract_left_partial_tileLj256ELj32ELb1EJPxPiS1_jEEvDpT3_,"axG",@progbits,_Z6kernelI26subtract_left_partial_tileLj256ELj32ELb1EJPxPiS1_jEEvDpT3_,comdat
.Lfunc_end173:
	.size	_Z6kernelI26subtract_left_partial_tileLj256ELj32ELb1EJPxPiS1_jEEvDpT3_, .Lfunc_end173-_Z6kernelI26subtract_left_partial_tileLj256ELj32ELb1EJPxPiS1_jEEvDpT3_
                                        ; -- End function
	.set _Z6kernelI26subtract_left_partial_tileLj256ELj32ELb1EJPxPiS1_jEEvDpT3_.num_vgpr, 95
	.set _Z6kernelI26subtract_left_partial_tileLj256ELj32ELb1EJPxPiS1_jEEvDpT3_.num_agpr, 0
	.set _Z6kernelI26subtract_left_partial_tileLj256ELj32ELb1EJPxPiS1_jEEvDpT3_.numbered_sgpr, 14
	.set _Z6kernelI26subtract_left_partial_tileLj256ELj32ELb1EJPxPiS1_jEEvDpT3_.num_named_barrier, 0
	.set _Z6kernelI26subtract_left_partial_tileLj256ELj32ELb1EJPxPiS1_jEEvDpT3_.private_seg_size, 0
	.set _Z6kernelI26subtract_left_partial_tileLj256ELj32ELb1EJPxPiS1_jEEvDpT3_.uses_vcc, 1
	.set _Z6kernelI26subtract_left_partial_tileLj256ELj32ELb1EJPxPiS1_jEEvDpT3_.uses_flat_scratch, 0
	.set _Z6kernelI26subtract_left_partial_tileLj256ELj32ELb1EJPxPiS1_jEEvDpT3_.has_dyn_sized_stack, 0
	.set _Z6kernelI26subtract_left_partial_tileLj256ELj32ELb1EJPxPiS1_jEEvDpT3_.has_recursion, 0
	.set _Z6kernelI26subtract_left_partial_tileLj256ELj32ELb1EJPxPiS1_jEEvDpT3_.has_indirect_call, 0
	.section	.AMDGPU.csdata,"",@progbits
; Kernel info:
; codeLenInByte = 3456
; TotalNumSgprs: 16
; NumVgprs: 95
; ScratchSize: 0
; MemoryBound: 0
; FloatMode: 240
; IeeeMode: 1
; LDSByteSize: 4096 bytes/workgroup (compile time only)
; SGPRBlocks: 0
; VGPRBlocks: 11
; NumSGPRsForWavesPerEU: 16
; NumVGPRsForWavesPerEU: 95
; Occupancy: 16
; WaveLimiterHint : 1
; COMPUTE_PGM_RSRC2:SCRATCH_EN: 0
; COMPUTE_PGM_RSRC2:USER_SGPR: 2
; COMPUTE_PGM_RSRC2:TRAP_HANDLER: 0
; COMPUTE_PGM_RSRC2:TGID_X_EN: 1
; COMPUTE_PGM_RSRC2:TGID_Y_EN: 0
; COMPUTE_PGM_RSRC2:TGID_Z_EN: 0
; COMPUTE_PGM_RSRC2:TIDIG_COMP_CNT: 0
	.section	.text._Z6kernelI26subtract_left_partial_tileLj256ELj1ELb1EJPdPiS1_jEEvDpT3_,"axG",@progbits,_Z6kernelI26subtract_left_partial_tileLj256ELj1ELb1EJPdPiS1_jEEvDpT3_,comdat
	.protected	_Z6kernelI26subtract_left_partial_tileLj256ELj1ELb1EJPdPiS1_jEEvDpT3_ ; -- Begin function _Z6kernelI26subtract_left_partial_tileLj256ELj1ELb1EJPdPiS1_jEEvDpT3_
	.globl	_Z6kernelI26subtract_left_partial_tileLj256ELj1ELb1EJPdPiS1_jEEvDpT3_
	.p2align	8
	.type	_Z6kernelI26subtract_left_partial_tileLj256ELj1ELb1EJPdPiS1_jEEvDpT3_,@function
_Z6kernelI26subtract_left_partial_tileLj256ELj1ELb1EJPdPiS1_jEEvDpT3_: ; @_Z6kernelI26subtract_left_partial_tileLj256ELj1ELb1EJPdPiS1_jEEvDpT3_
; %bb.0:
	s_load_b128 s[8:11], s[0:1], 0x0
	s_lshl_b32 s6, ttmp9, 8
	s_mov_b32 s7, 0
	v_lshlrev_b32_e32 v5, 3, v0
	s_lshl_b64 s[4:5], s[6:7], 3
	s_load_b96 s[0:2], s[0:1], 0x10
	v_cmp_ne_u32_e32 vcc_lo, 0, v0
	s_delay_alu instid0(VALU_DEP_2)
	v_add_nc_u32_e32 v6, -8, v5
	s_wait_kmcnt 0x0
	s_add_nc_u64 s[8:9], s[8:9], s[4:5]
	global_load_b64 v[1:2], v5, s[8:9]
	s_cvt_f32_u32 s3, s2
	s_sub_co_i32 s6, 0, s2
	s_delay_alu instid0(SALU_CYCLE_2) | instskip(NEXT) | instid1(TRANS32_DEP_1)
	v_rcp_iflag_f32_e32 v3, s3
	v_readfirstlane_b32 s3, v3
	s_mul_f32 s3, s3, 0x4f7ffffe
	s_wait_alu 0xfffe
	s_delay_alu instid0(SALU_CYCLE_2) | instskip(SKIP_1) | instid1(SALU_CYCLE_2)
	s_cvt_u32_f32 s3, s3
	s_wait_alu 0xfffe
	s_mul_i32 s8, s6, s3
	s_mov_b32 s6, ttmp9
	s_mul_hi_u32 s8, s3, s8
	s_lshl_b64 s[6:7], s[6:7], 2
	s_add_co_i32 s8, s3, s8
	s_add_nc_u64 s[6:7], s[10:11], s[6:7]
	s_load_b32 s3, s[6:7], 0x0
	s_lshr_b32 s7, s8, 24
	s_delay_alu instid0(SALU_CYCLE_1)
	s_mul_i32 s6, s7, s2
	s_add_co_i32 s9, s7, 1
	s_sub_co_i32 s8, 0x100, s6
	s_mov_b32 s6, s0
	s_sub_co_i32 s10, s8, s2
	s_cmp_ge_u32 s8, s2
	s_cselect_b32 s0, s9, s7
	s_cselect_b32 s7, s10, s8
	s_add_co_i32 s8, s0, 1
	s_cmp_ge_u32 s7, s2
	s_mov_b32 s7, s1
	s_cselect_b32 s0, s8, s0
	s_delay_alu instid0(SALU_CYCLE_1)
	s_add_co_i32 s1, s0, 1
	s_branch .LBB174_2
.LBB174_1:                              ;   in Loop: Header=BB174_2 Depth=1
	s_wait_alu 0xfffe
	s_or_b32 exec_lo, exec_lo, s0
	s_wait_dscnt 0x0
	v_add_f64_e64 v[3:4], v[1:2], -v[3:4]
	s_wait_kmcnt 0x0
	v_cmp_gt_u32_e64 s0, s3, v0
	s_add_co_i32 s2, s2, -1
	s_wait_loadcnt 0x0
	s_barrier_signal -1
	s_barrier_wait -1
	global_inv scope:SCOPE_SE
	v_cndmask_b32_e64 v4, v2, v4, s0
	v_cndmask_b32_e64 v3, v1, v3, s0
	s_add_co_i32 s0, s1, s3
	s_wait_alu 0xfffe
	s_and_b32 s3, s0, 0xff
	s_cmp_lg_u32 s2, 0
	v_add_f64_e32 v[1:2], v[1:2], v[3:4]
	s_cbranch_scc0 .LBB174_4
.LBB174_2:                              ; =>This Inner Loop Header: Depth=1
	v_mov_b32_e32 v3, 0
	v_mov_b32_e32 v4, 0x405ec000
	s_wait_loadcnt 0x0
	ds_store_b64 v5, v[1:2]
	s_wait_dscnt 0x0
	s_barrier_signal -1
	s_barrier_wait -1
	global_inv scope:SCOPE_SE
	s_and_saveexec_b32 s0, vcc_lo
	s_cbranch_execz .LBB174_1
; %bb.3:                                ;   in Loop: Header=BB174_2 Depth=1
	ds_load_b64 v[3:4], v6
	s_branch .LBB174_1
.LBB174_4:
	v_lshlrev_b32_e32 v0, 3, v0
	s_add_nc_u64 s[0:1], s[6:7], s[4:5]
	global_store_b64 v0, v[1:2], s[0:1]
	s_endpgm
	.section	.rodata,"a",@progbits
	.p2align	6, 0x0
	.amdhsa_kernel _Z6kernelI26subtract_left_partial_tileLj256ELj1ELb1EJPdPiS1_jEEvDpT3_
		.amdhsa_group_segment_fixed_size 4096
		.amdhsa_private_segment_fixed_size 0
		.amdhsa_kernarg_size 28
		.amdhsa_user_sgpr_count 2
		.amdhsa_user_sgpr_dispatch_ptr 0
		.amdhsa_user_sgpr_queue_ptr 0
		.amdhsa_user_sgpr_kernarg_segment_ptr 1
		.amdhsa_user_sgpr_dispatch_id 0
		.amdhsa_user_sgpr_private_segment_size 0
		.amdhsa_wavefront_size32 1
		.amdhsa_uses_dynamic_stack 0
		.amdhsa_enable_private_segment 0
		.amdhsa_system_sgpr_workgroup_id_x 1
		.amdhsa_system_sgpr_workgroup_id_y 0
		.amdhsa_system_sgpr_workgroup_id_z 0
		.amdhsa_system_sgpr_workgroup_info 0
		.amdhsa_system_vgpr_workitem_id 0
		.amdhsa_next_free_vgpr 7
		.amdhsa_next_free_sgpr 12
		.amdhsa_reserve_vcc 1
		.amdhsa_float_round_mode_32 0
		.amdhsa_float_round_mode_16_64 0
		.amdhsa_float_denorm_mode_32 3
		.amdhsa_float_denorm_mode_16_64 3
		.amdhsa_fp16_overflow 0
		.amdhsa_workgroup_processor_mode 1
		.amdhsa_memory_ordered 1
		.amdhsa_forward_progress 1
		.amdhsa_inst_pref_size 4
		.amdhsa_round_robin_scheduling 0
		.amdhsa_exception_fp_ieee_invalid_op 0
		.amdhsa_exception_fp_denorm_src 0
		.amdhsa_exception_fp_ieee_div_zero 0
		.amdhsa_exception_fp_ieee_overflow 0
		.amdhsa_exception_fp_ieee_underflow 0
		.amdhsa_exception_fp_ieee_inexact 0
		.amdhsa_exception_int_div_zero 0
	.end_amdhsa_kernel
	.section	.text._Z6kernelI26subtract_left_partial_tileLj256ELj1ELb1EJPdPiS1_jEEvDpT3_,"axG",@progbits,_Z6kernelI26subtract_left_partial_tileLj256ELj1ELb1EJPdPiS1_jEEvDpT3_,comdat
.Lfunc_end174:
	.size	_Z6kernelI26subtract_left_partial_tileLj256ELj1ELb1EJPdPiS1_jEEvDpT3_, .Lfunc_end174-_Z6kernelI26subtract_left_partial_tileLj256ELj1ELb1EJPdPiS1_jEEvDpT3_
                                        ; -- End function
	.set _Z6kernelI26subtract_left_partial_tileLj256ELj1ELb1EJPdPiS1_jEEvDpT3_.num_vgpr, 7
	.set _Z6kernelI26subtract_left_partial_tileLj256ELj1ELb1EJPdPiS1_jEEvDpT3_.num_agpr, 0
	.set _Z6kernelI26subtract_left_partial_tileLj256ELj1ELb1EJPdPiS1_jEEvDpT3_.numbered_sgpr, 12
	.set _Z6kernelI26subtract_left_partial_tileLj256ELj1ELb1EJPdPiS1_jEEvDpT3_.num_named_barrier, 0
	.set _Z6kernelI26subtract_left_partial_tileLj256ELj1ELb1EJPdPiS1_jEEvDpT3_.private_seg_size, 0
	.set _Z6kernelI26subtract_left_partial_tileLj256ELj1ELb1EJPdPiS1_jEEvDpT3_.uses_vcc, 1
	.set _Z6kernelI26subtract_left_partial_tileLj256ELj1ELb1EJPdPiS1_jEEvDpT3_.uses_flat_scratch, 0
	.set _Z6kernelI26subtract_left_partial_tileLj256ELj1ELb1EJPdPiS1_jEEvDpT3_.has_dyn_sized_stack, 0
	.set _Z6kernelI26subtract_left_partial_tileLj256ELj1ELb1EJPdPiS1_jEEvDpT3_.has_recursion, 0
	.set _Z6kernelI26subtract_left_partial_tileLj256ELj1ELb1EJPdPiS1_jEEvDpT3_.has_indirect_call, 0
	.section	.AMDGPU.csdata,"",@progbits
; Kernel info:
; codeLenInByte = 408
; TotalNumSgprs: 14
; NumVgprs: 7
; ScratchSize: 0
; MemoryBound: 0
; FloatMode: 240
; IeeeMode: 1
; LDSByteSize: 4096 bytes/workgroup (compile time only)
; SGPRBlocks: 0
; VGPRBlocks: 0
; NumSGPRsForWavesPerEU: 14
; NumVGPRsForWavesPerEU: 7
; Occupancy: 16
; WaveLimiterHint : 0
; COMPUTE_PGM_RSRC2:SCRATCH_EN: 0
; COMPUTE_PGM_RSRC2:USER_SGPR: 2
; COMPUTE_PGM_RSRC2:TRAP_HANDLER: 0
; COMPUTE_PGM_RSRC2:TGID_X_EN: 1
; COMPUTE_PGM_RSRC2:TGID_Y_EN: 0
; COMPUTE_PGM_RSRC2:TGID_Z_EN: 0
; COMPUTE_PGM_RSRC2:TIDIG_COMP_CNT: 0
	.section	.text._Z6kernelI26subtract_left_partial_tileLj256ELj3ELb1EJPdPiS1_jEEvDpT3_,"axG",@progbits,_Z6kernelI26subtract_left_partial_tileLj256ELj3ELb1EJPdPiS1_jEEvDpT3_,comdat
	.protected	_Z6kernelI26subtract_left_partial_tileLj256ELj3ELb1EJPdPiS1_jEEvDpT3_ ; -- Begin function _Z6kernelI26subtract_left_partial_tileLj256ELj3ELb1EJPdPiS1_jEEvDpT3_
	.globl	_Z6kernelI26subtract_left_partial_tileLj256ELj3ELb1EJPdPiS1_jEEvDpT3_
	.p2align	8
	.type	_Z6kernelI26subtract_left_partial_tileLj256ELj3ELb1EJPdPiS1_jEEvDpT3_,@function
_Z6kernelI26subtract_left_partial_tileLj256ELj3ELb1EJPdPiS1_jEEvDpT3_: ; @_Z6kernelI26subtract_left_partial_tileLj256ELj3ELb1EJPdPiS1_jEEvDpT3_
; %bb.0:
	s_clause 0x1
	s_load_b128 s[12:15], s[0:1], 0x0
	s_load_b96 s[4:6], s[0:1], 0x10
	s_mul_i32 s2, ttmp9, 0x300
	s_mov_b32 s3, 0
	v_lshlrev_b32_e32 v9, 3, v0
	s_lshl_b64 s[8:9], s[2:3], 3
	s_mov_b32 s2, ttmp9
	v_mul_u32_u24_e32 v10, 3, v0
	v_mad_u32_u24 v11, v0, 3, 2
	v_mad_u32_u24 v12, v0, 3, 1
	v_add_nc_u32_e32 v13, -8, v9
	v_cmp_ne_u32_e32 vcc_lo, 0, v0
	s_wait_kmcnt 0x0
	s_add_nc_u64 s[0:1], s[12:13], s[8:9]
	s_clause 0x2
	global_load_b64 v[1:2], v9, s[0:1]
	global_load_b64 v[3:4], v9, s[0:1] offset:2048
	global_load_b64 v[5:6], v9, s[0:1] offset:4096
	s_cvt_f32_u32 s0, s6
	s_delay_alu instid0(SALU_CYCLE_3) | instskip(NEXT) | instid1(TRANS32_DEP_1)
	v_rcp_iflag_f32_e32 v7, s0
	v_readfirstlane_b32 s0, v7
	s_mul_f32 s0, s0, 0x4f7ffffe
	s_wait_alu 0xfffe
	s_delay_alu instid0(SALU_CYCLE_2) | instskip(SKIP_2) | instid1(SALU_CYCLE_1)
	s_cvt_u32_f32 s7, s0
	s_sub_co_i32 s0, 0, s6
	s_wait_alu 0xfffe
	s_mul_i32 s0, s0, s7
	s_wait_alu 0xfffe
	s_mul_hi_u32 s10, s7, s0
	s_lshl_b64 s[0:1], s[2:3], 2
	s_add_co_i32 s7, s7, s10
	s_wait_alu 0xfffe
	s_add_nc_u64 s[0:1], s[14:15], s[0:1]
	s_mul_hi_u32 s2, s7, 0x300
	s_load_b32 s3, s[0:1], 0x0
	s_mul_i32 s0, s2, s6
	s_add_co_i32 s1, s2, 1
	s_wait_alu 0xfffe
	s_sub_co_i32 s0, 0x300, s0
	s_wait_alu 0xfffe
	s_sub_co_i32 s7, s0, s6
	s_cmp_ge_u32 s0, s6
	s_cselect_b32 s1, s1, s2
	s_cselect_b32 s0, s7, s0
	s_wait_alu 0xfffe
	s_add_co_i32 s2, s1, 1
	s_cmp_ge_u32 s0, s6
	s_cselect_b32 s7, s2, s1
	s_delay_alu instid0(SALU_CYCLE_1)
	s_add_co_i32 s7, s7, 1
	s_branch .LBB175_2
.LBB175_1:                              ;   in Loop: Header=BB175_2 Depth=1
	s_wait_alu 0xfffe
	s_or_b32 exec_lo, exec_lo, s0
	v_add_f64_e64 v[14:15], v[5:6], -v[3:4]
	v_add_f64_e64 v[16:17], v[3:4], -v[1:2]
	s_wait_dscnt 0x0
	v_add_f64_e64 v[7:8], v[1:2], -v[7:8]
	s_wait_kmcnt 0x0
	v_cmp_gt_u32_e64 s0, s3, v12
	v_cmp_gt_u32_e64 s1, s3, v10
	;; [unrolled: 1-line block ×3, first 2 shown]
	s_add_co_i32 s6, s6, -1
	s_wait_loadcnt 0x0
	s_barrier_signal -1
	s_barrier_wait -1
	global_inv scope:SCOPE_SE
	s_wait_alu 0xf1ff
	v_cndmask_b32_e64 v15, v6, v15, s2
	v_cndmask_b32_e64 v17, v4, v17, s0
	;; [unrolled: 1-line block ×6, first 2 shown]
	s_add_co_i32 s0, s7, s3
	s_delay_alu instid0(VALU_DEP_3) | instskip(NEXT) | instid1(VALU_DEP_3)
	v_add_f64_e32 v[1:2], v[1:2], v[7:8]
	v_add_f64_e32 v[3:4], v[3:4], v[16:17]
	s_delay_alu instid0(VALU_DEP_3)
	v_add_f64_e32 v[5:6], v[5:6], v[14:15]
	s_wait_alu 0xfffe
	s_mul_hi_u32 s1, s0, 0xaaaaaaab
	s_wait_alu 0xfffe
	s_lshr_b32 s1, s1, 9
	s_wait_alu 0xfffe
	s_mulk_i32 s1, 0x300
	s_wait_alu 0xfffe
	s_sub_co_i32 s3, s0, s1
	s_cmp_lg_u32 s6, 0
	s_cbranch_scc0 .LBB175_4
.LBB175_2:                              ; =>This Inner Loop Header: Depth=1
	v_mov_b32_e32 v7, 0
	v_mov_b32_e32 v8, 0x405ec000
	s_wait_loadcnt 0x0
	ds_store_b64 v9, v[5:6]
	s_wait_dscnt 0x0
	s_barrier_signal -1
	s_barrier_wait -1
	global_inv scope:SCOPE_SE
	s_and_saveexec_b32 s0, vcc_lo
	s_cbranch_execz .LBB175_1
; %bb.3:                                ;   in Loop: Header=BB175_2 Depth=1
	ds_load_b64 v[7:8], v13
	s_branch .LBB175_1
.LBB175_4:
	v_lshlrev_b32_e32 v0, 3, v0
	s_add_nc_u64 s[0:1], s[4:5], s[8:9]
	s_clause 0x2
	global_store_b64 v0, v[1:2], s[0:1]
	global_store_b64 v0, v[3:4], s[0:1] offset:2048
	global_store_b64 v0, v[5:6], s[0:1] offset:4096
	s_endpgm
	.section	.rodata,"a",@progbits
	.p2align	6, 0x0
	.amdhsa_kernel _Z6kernelI26subtract_left_partial_tileLj256ELj3ELb1EJPdPiS1_jEEvDpT3_
		.amdhsa_group_segment_fixed_size 4096
		.amdhsa_private_segment_fixed_size 0
		.amdhsa_kernarg_size 28
		.amdhsa_user_sgpr_count 2
		.amdhsa_user_sgpr_dispatch_ptr 0
		.amdhsa_user_sgpr_queue_ptr 0
		.amdhsa_user_sgpr_kernarg_segment_ptr 1
		.amdhsa_user_sgpr_dispatch_id 0
		.amdhsa_user_sgpr_private_segment_size 0
		.amdhsa_wavefront_size32 1
		.amdhsa_uses_dynamic_stack 0
		.amdhsa_enable_private_segment 0
		.amdhsa_system_sgpr_workgroup_id_x 1
		.amdhsa_system_sgpr_workgroup_id_y 0
		.amdhsa_system_sgpr_workgroup_id_z 0
		.amdhsa_system_sgpr_workgroup_info 0
		.amdhsa_system_vgpr_workitem_id 0
		.amdhsa_next_free_vgpr 18
		.amdhsa_next_free_sgpr 16
		.amdhsa_reserve_vcc 1
		.amdhsa_float_round_mode_32 0
		.amdhsa_float_round_mode_16_64 0
		.amdhsa_float_denorm_mode_32 3
		.amdhsa_float_denorm_mode_16_64 3
		.amdhsa_fp16_overflow 0
		.amdhsa_workgroup_processor_mode 1
		.amdhsa_memory_ordered 1
		.amdhsa_forward_progress 1
		.amdhsa_inst_pref_size 5
		.amdhsa_round_robin_scheduling 0
		.amdhsa_exception_fp_ieee_invalid_op 0
		.amdhsa_exception_fp_denorm_src 0
		.amdhsa_exception_fp_ieee_div_zero 0
		.amdhsa_exception_fp_ieee_overflow 0
		.amdhsa_exception_fp_ieee_underflow 0
		.amdhsa_exception_fp_ieee_inexact 0
		.amdhsa_exception_int_div_zero 0
	.end_amdhsa_kernel
	.section	.text._Z6kernelI26subtract_left_partial_tileLj256ELj3ELb1EJPdPiS1_jEEvDpT3_,"axG",@progbits,_Z6kernelI26subtract_left_partial_tileLj256ELj3ELb1EJPdPiS1_jEEvDpT3_,comdat
.Lfunc_end175:
	.size	_Z6kernelI26subtract_left_partial_tileLj256ELj3ELb1EJPdPiS1_jEEvDpT3_, .Lfunc_end175-_Z6kernelI26subtract_left_partial_tileLj256ELj3ELb1EJPdPiS1_jEEvDpT3_
                                        ; -- End function
	.set _Z6kernelI26subtract_left_partial_tileLj256ELj3ELb1EJPdPiS1_jEEvDpT3_.num_vgpr, 18
	.set _Z6kernelI26subtract_left_partial_tileLj256ELj3ELb1EJPdPiS1_jEEvDpT3_.num_agpr, 0
	.set _Z6kernelI26subtract_left_partial_tileLj256ELj3ELb1EJPdPiS1_jEEvDpT3_.numbered_sgpr, 16
	.set _Z6kernelI26subtract_left_partial_tileLj256ELj3ELb1EJPdPiS1_jEEvDpT3_.num_named_barrier, 0
	.set _Z6kernelI26subtract_left_partial_tileLj256ELj3ELb1EJPdPiS1_jEEvDpT3_.private_seg_size, 0
	.set _Z6kernelI26subtract_left_partial_tileLj256ELj3ELb1EJPdPiS1_jEEvDpT3_.uses_vcc, 1
	.set _Z6kernelI26subtract_left_partial_tileLj256ELj3ELb1EJPdPiS1_jEEvDpT3_.uses_flat_scratch, 0
	.set _Z6kernelI26subtract_left_partial_tileLj256ELj3ELb1EJPdPiS1_jEEvDpT3_.has_dyn_sized_stack, 0
	.set _Z6kernelI26subtract_left_partial_tileLj256ELj3ELb1EJPdPiS1_jEEvDpT3_.has_recursion, 0
	.set _Z6kernelI26subtract_left_partial_tileLj256ELj3ELb1EJPdPiS1_jEEvDpT3_.has_indirect_call, 0
	.section	.AMDGPU.csdata,"",@progbits
; Kernel info:
; codeLenInByte = 608
; TotalNumSgprs: 18
; NumVgprs: 18
; ScratchSize: 0
; MemoryBound: 0
; FloatMode: 240
; IeeeMode: 1
; LDSByteSize: 4096 bytes/workgroup (compile time only)
; SGPRBlocks: 0
; VGPRBlocks: 2
; NumSGPRsForWavesPerEU: 18
; NumVGPRsForWavesPerEU: 18
; Occupancy: 16
; WaveLimiterHint : 1
; COMPUTE_PGM_RSRC2:SCRATCH_EN: 0
; COMPUTE_PGM_RSRC2:USER_SGPR: 2
; COMPUTE_PGM_RSRC2:TRAP_HANDLER: 0
; COMPUTE_PGM_RSRC2:TGID_X_EN: 1
; COMPUTE_PGM_RSRC2:TGID_Y_EN: 0
; COMPUTE_PGM_RSRC2:TGID_Z_EN: 0
; COMPUTE_PGM_RSRC2:TIDIG_COMP_CNT: 0
	.section	.text._Z6kernelI26subtract_left_partial_tileLj256ELj4ELb1EJPdPiS1_jEEvDpT3_,"axG",@progbits,_Z6kernelI26subtract_left_partial_tileLj256ELj4ELb1EJPdPiS1_jEEvDpT3_,comdat
	.protected	_Z6kernelI26subtract_left_partial_tileLj256ELj4ELb1EJPdPiS1_jEEvDpT3_ ; -- Begin function _Z6kernelI26subtract_left_partial_tileLj256ELj4ELb1EJPdPiS1_jEEvDpT3_
	.globl	_Z6kernelI26subtract_left_partial_tileLj256ELj4ELb1EJPdPiS1_jEEvDpT3_
	.p2align	8
	.type	_Z6kernelI26subtract_left_partial_tileLj256ELj4ELb1EJPdPiS1_jEEvDpT3_,@function
_Z6kernelI26subtract_left_partial_tileLj256ELj4ELb1EJPdPiS1_jEEvDpT3_: ; @_Z6kernelI26subtract_left_partial_tileLj256ELj4ELb1EJPdPiS1_jEEvDpT3_
; %bb.0:
	s_clause 0x1
	s_load_b128 s[12:15], s[0:1], 0x0
	s_load_b96 s[4:6], s[0:1], 0x10
	s_lshl_b32 s2, ttmp9, 10
	s_mov_b32 s3, 0
	v_lshlrev_b32_e32 v11, 3, v0
	s_lshl_b64 s[8:9], s[2:3], 3
	s_mov_b32 s2, ttmp9
	v_lshlrev_b32_e32 v12, 2, v0
	v_cmp_ne_u32_e32 vcc_lo, 0, v0
	v_add_nc_u32_e32 v16, -8, v11
	s_delay_alu instid0(VALU_DEP_3)
	v_or_b32_e32 v13, 3, v12
	v_or_b32_e32 v14, 2, v12
	v_or_b32_e32 v15, 1, v12
	s_wait_kmcnt 0x0
	s_add_nc_u64 s[0:1], s[12:13], s[8:9]
	s_clause 0x3
	global_load_b64 v[1:2], v11, s[0:1]
	global_load_b64 v[3:4], v11, s[0:1] offset:2048
	global_load_b64 v[5:6], v11, s[0:1] offset:4096
	;; [unrolled: 1-line block ×3, first 2 shown]
	s_cvt_f32_u32 s0, s6
	s_delay_alu instid0(SALU_CYCLE_3) | instskip(NEXT) | instid1(TRANS32_DEP_1)
	v_rcp_iflag_f32_e32 v9, s0
	v_readfirstlane_b32 s0, v9
	s_mul_f32 s0, s0, 0x4f7ffffe
	s_wait_alu 0xfffe
	s_delay_alu instid0(SALU_CYCLE_2) | instskip(SKIP_2) | instid1(SALU_CYCLE_1)
	s_cvt_u32_f32 s7, s0
	s_sub_co_i32 s0, 0, s6
	s_wait_alu 0xfffe
	s_mul_i32 s0, s0, s7
	s_wait_alu 0xfffe
	s_mul_hi_u32 s10, s7, s0
	s_lshl_b64 s[0:1], s[2:3], 2
	s_add_co_i32 s7, s7, s10
	s_wait_alu 0xfffe
	s_add_nc_u64 s[0:1], s[14:15], s[0:1]
	s_lshr_b32 s2, s7, 22
	s_load_b32 s7, s[0:1], 0x0
	s_mul_i32 s0, s2, s6
	s_add_co_i32 s1, s2, 1
	s_wait_alu 0xfffe
	s_sub_co_i32 s0, 0x400, s0
	s_wait_alu 0xfffe
	s_sub_co_i32 s3, s0, s6
	s_cmp_ge_u32 s0, s6
	s_cselect_b32 s1, s1, s2
	s_cselect_b32 s0, s3, s0
	s_wait_alu 0xfffe
	s_add_co_i32 s2, s1, 1
	s_cmp_ge_u32 s0, s6
	s_cselect_b32 s10, s2, s1
	s_delay_alu instid0(SALU_CYCLE_1)
	s_add_co_i32 s10, s10, 1
	s_branch .LBB176_2
.LBB176_1:                              ;   in Loop: Header=BB176_2 Depth=1
	s_wait_alu 0xfffe
	s_or_b32 exec_lo, exec_lo, s0
	v_add_f64_e64 v[17:18], v[7:8], -v[5:6]
	v_add_f64_e64 v[19:20], v[5:6], -v[3:4]
	;; [unrolled: 1-line block ×3, first 2 shown]
	s_wait_dscnt 0x0
	v_add_f64_e64 v[9:10], v[1:2], -v[9:10]
	s_wait_kmcnt 0x0
	v_cmp_gt_u32_e64 s0, s7, v15
	v_cmp_gt_u32_e64 s1, s7, v12
	v_cmp_gt_u32_e64 s2, s7, v13
	v_cmp_gt_u32_e64 s3, s7, v14
	s_add_co_i32 s6, s6, -1
	s_wait_loadcnt 0x0
	s_barrier_signal -1
	s_barrier_wait -1
	global_inv scope:SCOPE_SE
	v_cndmask_b32_e64 v18, v8, v18, s2
	v_cndmask_b32_e64 v20, v6, v20, s3
	;; [unrolled: 1-line block ×8, first 2 shown]
	s_add_co_i32 s0, s10, s7
	v_add_f64_e32 v[1:2], v[1:2], v[9:10]
	v_add_f64_e32 v[3:4], v[3:4], v[21:22]
	;; [unrolled: 1-line block ×4, first 2 shown]
	s_wait_alu 0xfffe
	s_and_b32 s7, s0, 0x3ff
	s_cmp_lg_u32 s6, 0
	s_cbranch_scc0 .LBB176_4
.LBB176_2:                              ; =>This Inner Loop Header: Depth=1
	v_mov_b32_e32 v9, 0
	v_mov_b32_e32 v10, 0x405ec000
	s_wait_loadcnt 0x0
	ds_store_b64 v11, v[7:8]
	s_wait_dscnt 0x0
	s_barrier_signal -1
	s_barrier_wait -1
	global_inv scope:SCOPE_SE
	s_and_saveexec_b32 s0, vcc_lo
	s_cbranch_execz .LBB176_1
; %bb.3:                                ;   in Loop: Header=BB176_2 Depth=1
	ds_load_b64 v[9:10], v16
	s_branch .LBB176_1
.LBB176_4:
	v_lshlrev_b32_e32 v0, 3, v0
	s_add_nc_u64 s[0:1], s[4:5], s[8:9]
	s_clause 0x3
	global_store_b64 v0, v[1:2], s[0:1]
	global_store_b64 v0, v[3:4], s[0:1] offset:2048
	global_store_b64 v0, v[5:6], s[0:1] offset:4096
	;; [unrolled: 1-line block ×3, first 2 shown]
	s_endpgm
	.section	.rodata,"a",@progbits
	.p2align	6, 0x0
	.amdhsa_kernel _Z6kernelI26subtract_left_partial_tileLj256ELj4ELb1EJPdPiS1_jEEvDpT3_
		.amdhsa_group_segment_fixed_size 4096
		.amdhsa_private_segment_fixed_size 0
		.amdhsa_kernarg_size 28
		.amdhsa_user_sgpr_count 2
		.amdhsa_user_sgpr_dispatch_ptr 0
		.amdhsa_user_sgpr_queue_ptr 0
		.amdhsa_user_sgpr_kernarg_segment_ptr 1
		.amdhsa_user_sgpr_dispatch_id 0
		.amdhsa_user_sgpr_private_segment_size 0
		.amdhsa_wavefront_size32 1
		.amdhsa_uses_dynamic_stack 0
		.amdhsa_enable_private_segment 0
		.amdhsa_system_sgpr_workgroup_id_x 1
		.amdhsa_system_sgpr_workgroup_id_y 0
		.amdhsa_system_sgpr_workgroup_id_z 0
		.amdhsa_system_sgpr_workgroup_info 0
		.amdhsa_system_vgpr_workitem_id 0
		.amdhsa_next_free_vgpr 23
		.amdhsa_next_free_sgpr 16
		.amdhsa_reserve_vcc 1
		.amdhsa_float_round_mode_32 0
		.amdhsa_float_round_mode_16_64 0
		.amdhsa_float_denorm_mode_32 3
		.amdhsa_float_denorm_mode_16_64 3
		.amdhsa_fp16_overflow 0
		.amdhsa_workgroup_processor_mode 1
		.amdhsa_memory_ordered 1
		.amdhsa_forward_progress 1
		.amdhsa_inst_pref_size 5
		.amdhsa_round_robin_scheduling 0
		.amdhsa_exception_fp_ieee_invalid_op 0
		.amdhsa_exception_fp_denorm_src 0
		.amdhsa_exception_fp_ieee_div_zero 0
		.amdhsa_exception_fp_ieee_overflow 0
		.amdhsa_exception_fp_ieee_underflow 0
		.amdhsa_exception_fp_ieee_inexact 0
		.amdhsa_exception_int_div_zero 0
	.end_amdhsa_kernel
	.section	.text._Z6kernelI26subtract_left_partial_tileLj256ELj4ELb1EJPdPiS1_jEEvDpT3_,"axG",@progbits,_Z6kernelI26subtract_left_partial_tileLj256ELj4ELb1EJPdPiS1_jEEvDpT3_,comdat
.Lfunc_end176:
	.size	_Z6kernelI26subtract_left_partial_tileLj256ELj4ELb1EJPdPiS1_jEEvDpT3_, .Lfunc_end176-_Z6kernelI26subtract_left_partial_tileLj256ELj4ELb1EJPdPiS1_jEEvDpT3_
                                        ; -- End function
	.set _Z6kernelI26subtract_left_partial_tileLj256ELj4ELb1EJPdPiS1_jEEvDpT3_.num_vgpr, 23
	.set _Z6kernelI26subtract_left_partial_tileLj256ELj4ELb1EJPdPiS1_jEEvDpT3_.num_agpr, 0
	.set _Z6kernelI26subtract_left_partial_tileLj256ELj4ELb1EJPdPiS1_jEEvDpT3_.numbered_sgpr, 16
	.set _Z6kernelI26subtract_left_partial_tileLj256ELj4ELb1EJPdPiS1_jEEvDpT3_.num_named_barrier, 0
	.set _Z6kernelI26subtract_left_partial_tileLj256ELj4ELb1EJPdPiS1_jEEvDpT3_.private_seg_size, 0
	.set _Z6kernelI26subtract_left_partial_tileLj256ELj4ELb1EJPdPiS1_jEEvDpT3_.uses_vcc, 1
	.set _Z6kernelI26subtract_left_partial_tileLj256ELj4ELb1EJPdPiS1_jEEvDpT3_.uses_flat_scratch, 0
	.set _Z6kernelI26subtract_left_partial_tileLj256ELj4ELb1EJPdPiS1_jEEvDpT3_.has_dyn_sized_stack, 0
	.set _Z6kernelI26subtract_left_partial_tileLj256ELj4ELb1EJPdPiS1_jEEvDpT3_.has_recursion, 0
	.set _Z6kernelI26subtract_left_partial_tileLj256ELj4ELb1EJPdPiS1_jEEvDpT3_.has_indirect_call, 0
	.section	.AMDGPU.csdata,"",@progbits
; Kernel info:
; codeLenInByte = 624
; TotalNumSgprs: 18
; NumVgprs: 23
; ScratchSize: 0
; MemoryBound: 0
; FloatMode: 240
; IeeeMode: 1
; LDSByteSize: 4096 bytes/workgroup (compile time only)
; SGPRBlocks: 0
; VGPRBlocks: 2
; NumSGPRsForWavesPerEU: 18
; NumVGPRsForWavesPerEU: 23
; Occupancy: 16
; WaveLimiterHint : 1
; COMPUTE_PGM_RSRC2:SCRATCH_EN: 0
; COMPUTE_PGM_RSRC2:USER_SGPR: 2
; COMPUTE_PGM_RSRC2:TRAP_HANDLER: 0
; COMPUTE_PGM_RSRC2:TGID_X_EN: 1
; COMPUTE_PGM_RSRC2:TGID_Y_EN: 0
; COMPUTE_PGM_RSRC2:TGID_Z_EN: 0
; COMPUTE_PGM_RSRC2:TIDIG_COMP_CNT: 0
	.section	.text._Z6kernelI26subtract_left_partial_tileLj256ELj8ELb1EJPdPiS1_jEEvDpT3_,"axG",@progbits,_Z6kernelI26subtract_left_partial_tileLj256ELj8ELb1EJPdPiS1_jEEvDpT3_,comdat
	.protected	_Z6kernelI26subtract_left_partial_tileLj256ELj8ELb1EJPdPiS1_jEEvDpT3_ ; -- Begin function _Z6kernelI26subtract_left_partial_tileLj256ELj8ELb1EJPdPiS1_jEEvDpT3_
	.globl	_Z6kernelI26subtract_left_partial_tileLj256ELj8ELb1EJPdPiS1_jEEvDpT3_
	.p2align	8
	.type	_Z6kernelI26subtract_left_partial_tileLj256ELj8ELb1EJPdPiS1_jEEvDpT3_,@function
_Z6kernelI26subtract_left_partial_tileLj256ELj8ELb1EJPdPiS1_jEEvDpT3_: ; @_Z6kernelI26subtract_left_partial_tileLj256ELj8ELb1EJPdPiS1_jEEvDpT3_
; %bb.0:
	s_clause 0x1
	s_load_b128 s[12:15], s[0:1], 0x0
	s_load_b96 s[4:6], s[0:1], 0x10
	s_lshl_b32 s2, ttmp9, 11
	s_mov_b32 s3, 0
	v_lshlrev_b32_e32 v19, 3, v0
	s_lshl_b64 s[8:9], s[2:3], 3
	s_mov_b32 s2, ttmp9
	v_cmp_ne_u32_e32 vcc_lo, 0, v0
	s_delay_alu instid0(VALU_DEP_2)
	v_or_b32_e32 v20, 7, v19
	v_or_b32_e32 v21, 6, v19
	;; [unrolled: 1-line block ×7, first 2 shown]
	v_add_nc_u32_e32 v27, -8, v19
	s_wait_kmcnt 0x0
	s_add_nc_u64 s[0:1], s[12:13], s[8:9]
	s_mov_b32 s10, s4
	s_clause 0x7
	global_load_b64 v[13:14], v19, s[0:1]
	global_load_b64 v[11:12], v19, s[0:1] offset:2048
	global_load_b64 v[9:10], v19, s[0:1] offset:4096
	;; [unrolled: 1-line block ×7, first 2 shown]
	s_cvt_f32_u32 s0, s6
	s_sub_co_i32 s1, 0, s6
	s_mov_b32 s11, s5
	s_delay_alu instid0(SALU_CYCLE_1) | instskip(NEXT) | instid1(TRANS32_DEP_1)
	v_rcp_iflag_f32_e32 v17, s0
	v_readfirstlane_b32 s0, v17
	s_mul_f32 s0, s0, 0x4f7ffffe
	s_wait_alu 0xfffe
	s_delay_alu instid0(SALU_CYCLE_2) | instskip(SKIP_1) | instid1(SALU_CYCLE_2)
	s_cvt_u32_f32 s0, s0
	s_wait_alu 0xfffe
	s_mul_i32 s1, s1, s0
	s_wait_alu 0xfffe
	s_mul_hi_u32 s1, s0, s1
	s_wait_alu 0xfffe
	s_add_co_i32 s7, s0, s1
	s_lshl_b64 s[0:1], s[2:3], 2
	s_lshr_b32 s2, s7, 21
	s_wait_alu 0xfffe
	s_add_nc_u64 s[0:1], s[14:15], s[0:1]
	s_mul_i32 s3, s2, s6
	s_load_b32 s7, s[0:1], 0x0
	s_sub_co_i32 s0, 0x800, s3
	s_add_co_i32 s1, s2, 1
	s_wait_alu 0xfffe
	s_sub_co_i32 s3, s0, s6
	s_cmp_ge_u32 s0, s6
	s_cselect_b32 s1, s1, s2
	s_cselect_b32 s0, s3, s0
	s_wait_alu 0xfffe
	s_add_co_i32 s2, s1, 1
	s_cmp_ge_u32 s0, s6
	s_cselect_b32 s0, s2, s1
	s_wait_alu 0xfffe
	s_add_co_i32 s5, s0, 1
	s_branch .LBB177_2
.LBB177_1:                              ;   in Loop: Header=BB177_2 Depth=1
	s_wait_alu 0xfffe
	s_or_b32 exec_lo, exec_lo, s0
	v_add_f64_e64 v[28:29], v[15:16], -v[1:2]
	v_add_f64_e64 v[30:31], v[1:2], -v[3:4]
	;; [unrolled: 1-line block ×7, first 2 shown]
	s_wait_dscnt 0x0
	v_add_f64_e64 v[17:18], v[13:14], -v[17:18]
	s_wait_kmcnt 0x0
	v_cmp_gt_u32_e64 s0, s7, v20
	v_cmp_gt_u32_e64 s1, s7, v21
	;; [unrolled: 1-line block ×5, first 2 shown]
	s_add_co_i32 s6, s6, -1
	s_wait_loadcnt 0x0
	s_barrier_signal -1
	s_barrier_wait -1
	global_inv scope:SCOPE_SE
	v_cndmask_b32_e64 v29, v16, v29, s0
	v_cndmask_b32_e64 v28, v15, v28, s0
	;; [unrolled: 1-line block ×6, first 2 shown]
	v_cmp_gt_u32_e64 s0, s7, v23
	v_cmp_gt_u32_e64 s1, s7, v24
	;; [unrolled: 1-line block ×3, first 2 shown]
	v_cndmask_b32_e64 v41, v12, v41, s3
	v_cndmask_b32_e64 v18, v14, v18, s4
	s_wait_alu 0xf1ff
	v_cndmask_b32_e64 v35, v6, v35, s0
	v_cndmask_b32_e64 v37, v8, v37, s1
	;; [unrolled: 1-line block ×8, first 2 shown]
	v_add_f64_e32 v[13:14], v[13:14], v[17:18]
	v_add_f64_e32 v[11:12], v[11:12], v[40:41]
	;; [unrolled: 1-line block ×8, first 2 shown]
	s_add_co_i32 s0, s5, s7
	s_wait_alu 0xfffe
	s_and_b32 s7, s0, 0x7ff
	s_cmp_lg_u32 s6, 0
	s_cbranch_scc0 .LBB177_4
.LBB177_2:                              ; =>This Inner Loop Header: Depth=1
	v_mov_b32_e32 v17, 0
	v_mov_b32_e32 v18, 0x405ec000
	s_wait_loadcnt 0x0
	ds_store_b64 v19, v[15:16]
	s_wait_dscnt 0x0
	s_barrier_signal -1
	s_barrier_wait -1
	global_inv scope:SCOPE_SE
	s_and_saveexec_b32 s0, vcc_lo
	s_cbranch_execz .LBB177_1
; %bb.3:                                ;   in Loop: Header=BB177_2 Depth=1
	ds_load_b64 v[17:18], v27
	s_branch .LBB177_1
.LBB177_4:
	v_lshlrev_b32_e32 v0, 3, v0
	s_add_nc_u64 s[0:1], s[10:11], s[8:9]
	s_clause 0x7
	global_store_b64 v0, v[13:14], s[0:1]
	global_store_b64 v0, v[11:12], s[0:1] offset:2048
	global_store_b64 v0, v[9:10], s[0:1] offset:4096
	;; [unrolled: 1-line block ×7, first 2 shown]
	s_endpgm
	.section	.rodata,"a",@progbits
	.p2align	6, 0x0
	.amdhsa_kernel _Z6kernelI26subtract_left_partial_tileLj256ELj8ELb1EJPdPiS1_jEEvDpT3_
		.amdhsa_group_segment_fixed_size 4096
		.amdhsa_private_segment_fixed_size 0
		.amdhsa_kernarg_size 28
		.amdhsa_user_sgpr_count 2
		.amdhsa_user_sgpr_dispatch_ptr 0
		.amdhsa_user_sgpr_queue_ptr 0
		.amdhsa_user_sgpr_kernarg_segment_ptr 1
		.amdhsa_user_sgpr_dispatch_id 0
		.amdhsa_user_sgpr_private_segment_size 0
		.amdhsa_wavefront_size32 1
		.amdhsa_uses_dynamic_stack 0
		.amdhsa_enable_private_segment 0
		.amdhsa_system_sgpr_workgroup_id_x 1
		.amdhsa_system_sgpr_workgroup_id_y 0
		.amdhsa_system_sgpr_workgroup_id_z 0
		.amdhsa_system_sgpr_workgroup_info 0
		.amdhsa_system_vgpr_workitem_id 0
		.amdhsa_next_free_vgpr 42
		.amdhsa_next_free_sgpr 16
		.amdhsa_reserve_vcc 1
		.amdhsa_float_round_mode_32 0
		.amdhsa_float_round_mode_16_64 0
		.amdhsa_float_denorm_mode_32 3
		.amdhsa_float_denorm_mode_16_64 3
		.amdhsa_fp16_overflow 0
		.amdhsa_workgroup_processor_mode 1
		.amdhsa_memory_ordered 1
		.amdhsa_forward_progress 1
		.amdhsa_inst_pref_size 7
		.amdhsa_round_robin_scheduling 0
		.amdhsa_exception_fp_ieee_invalid_op 0
		.amdhsa_exception_fp_denorm_src 0
		.amdhsa_exception_fp_ieee_div_zero 0
		.amdhsa_exception_fp_ieee_overflow 0
		.amdhsa_exception_fp_ieee_underflow 0
		.amdhsa_exception_fp_ieee_inexact 0
		.amdhsa_exception_int_div_zero 0
	.end_amdhsa_kernel
	.section	.text._Z6kernelI26subtract_left_partial_tileLj256ELj8ELb1EJPdPiS1_jEEvDpT3_,"axG",@progbits,_Z6kernelI26subtract_left_partial_tileLj256ELj8ELb1EJPdPiS1_jEEvDpT3_,comdat
.Lfunc_end177:
	.size	_Z6kernelI26subtract_left_partial_tileLj256ELj8ELb1EJPdPiS1_jEEvDpT3_, .Lfunc_end177-_Z6kernelI26subtract_left_partial_tileLj256ELj8ELb1EJPdPiS1_jEEvDpT3_
                                        ; -- End function
	.set _Z6kernelI26subtract_left_partial_tileLj256ELj8ELb1EJPdPiS1_jEEvDpT3_.num_vgpr, 42
	.set _Z6kernelI26subtract_left_partial_tileLj256ELj8ELb1EJPdPiS1_jEEvDpT3_.num_agpr, 0
	.set _Z6kernelI26subtract_left_partial_tileLj256ELj8ELb1EJPdPiS1_jEEvDpT3_.numbered_sgpr, 16
	.set _Z6kernelI26subtract_left_partial_tileLj256ELj8ELb1EJPdPiS1_jEEvDpT3_.num_named_barrier, 0
	.set _Z6kernelI26subtract_left_partial_tileLj256ELj8ELb1EJPdPiS1_jEEvDpT3_.private_seg_size, 0
	.set _Z6kernelI26subtract_left_partial_tileLj256ELj8ELb1EJPdPiS1_jEEvDpT3_.uses_vcc, 1
	.set _Z6kernelI26subtract_left_partial_tileLj256ELj8ELb1EJPdPiS1_jEEvDpT3_.uses_flat_scratch, 0
	.set _Z6kernelI26subtract_left_partial_tileLj256ELj8ELb1EJPdPiS1_jEEvDpT3_.has_dyn_sized_stack, 0
	.set _Z6kernelI26subtract_left_partial_tileLj256ELj8ELb1EJPdPiS1_jEEvDpT3_.has_recursion, 0
	.set _Z6kernelI26subtract_left_partial_tileLj256ELj8ELb1EJPdPiS1_jEEvDpT3_.has_indirect_call, 0
	.section	.AMDGPU.csdata,"",@progbits
; Kernel info:
; codeLenInByte = 888
; TotalNumSgprs: 18
; NumVgprs: 42
; ScratchSize: 0
; MemoryBound: 0
; FloatMode: 240
; IeeeMode: 1
; LDSByteSize: 4096 bytes/workgroup (compile time only)
; SGPRBlocks: 0
; VGPRBlocks: 5
; NumSGPRsForWavesPerEU: 18
; NumVGPRsForWavesPerEU: 42
; Occupancy: 16
; WaveLimiterHint : 1
; COMPUTE_PGM_RSRC2:SCRATCH_EN: 0
; COMPUTE_PGM_RSRC2:USER_SGPR: 2
; COMPUTE_PGM_RSRC2:TRAP_HANDLER: 0
; COMPUTE_PGM_RSRC2:TGID_X_EN: 1
; COMPUTE_PGM_RSRC2:TGID_Y_EN: 0
; COMPUTE_PGM_RSRC2:TGID_Z_EN: 0
; COMPUTE_PGM_RSRC2:TIDIG_COMP_CNT: 0
	.section	.text._Z6kernelI26subtract_left_partial_tileLj256ELj16ELb1EJPdPiS1_jEEvDpT3_,"axG",@progbits,_Z6kernelI26subtract_left_partial_tileLj256ELj16ELb1EJPdPiS1_jEEvDpT3_,comdat
	.protected	_Z6kernelI26subtract_left_partial_tileLj256ELj16ELb1EJPdPiS1_jEEvDpT3_ ; -- Begin function _Z6kernelI26subtract_left_partial_tileLj256ELj16ELb1EJPdPiS1_jEEvDpT3_
	.globl	_Z6kernelI26subtract_left_partial_tileLj256ELj16ELb1EJPdPiS1_jEEvDpT3_
	.p2align	8
	.type	_Z6kernelI26subtract_left_partial_tileLj256ELj16ELb1EJPdPiS1_jEEvDpT3_,@function
_Z6kernelI26subtract_left_partial_tileLj256ELj16ELb1EJPdPiS1_jEEvDpT3_: ; @_Z6kernelI26subtract_left_partial_tileLj256ELj16ELb1EJPdPiS1_jEEvDpT3_
; %bb.0:
	s_clause 0x1
	s_load_b128 s[4:7], s[0:1], 0x0
	s_load_b96 s[8:10], s[0:1], 0x10
	s_lshl_b32 s2, ttmp9, 12
	s_mov_b32 s3, 0
	v_lshlrev_b32_e32 v35, 3, v0
	s_lshl_b64 s[12:13], s[2:3], 3
	s_mov_b32 s2, ttmp9
	v_lshlrev_b32_e32 v36, 4, v0
	v_cmp_ne_u32_e32 vcc_lo, 0, v0
	v_add_nc_u32_e32 v52, -8, v35
	s_delay_alu instid0(VALU_DEP_3)
	v_or_b32_e32 v37, 15, v36
	v_or_b32_e32 v38, 14, v36
	;; [unrolled: 1-line block ×8, first 2 shown]
	s_wait_kmcnt 0x0
	s_add_nc_u64 s[0:1], s[4:5], s[12:13]
	v_or_b32_e32 v45, 7, v36
	s_clause 0xf
	global_load_b64 v[29:30], v35, s[0:1]
	global_load_b64 v[27:28], v35, s[0:1] offset:2048
	global_load_b64 v[25:26], v35, s[0:1] offset:4096
	;; [unrolled: 1-line block ×15, first 2 shown]
	s_cvt_f32_u32 s0, s10
	s_sub_co_i32 s1, 0, s10
	v_or_b32_e32 v46, 6, v36
	v_or_b32_e32 v47, 5, v36
	v_rcp_iflag_f32_e32 v33, s0
	v_or_b32_e32 v48, 4, v36
	v_or_b32_e32 v49, 3, v36
	;; [unrolled: 1-line block ×4, first 2 shown]
	s_delay_alu instid0(TRANS32_DEP_1) | instskip(SKIP_2) | instid1(SALU_CYCLE_2)
	v_readfirstlane_b32 s0, v33
	s_mul_f32 s0, s0, 0x4f7ffffe
	s_wait_alu 0xfffe
	s_cvt_u32_f32 s0, s0
	s_wait_alu 0xfffe
	s_delay_alu instid0(SALU_CYCLE_2)
	s_mul_i32 s1, s1, s0
	s_wait_alu 0xfffe
	s_mul_hi_u32 s1, s0, s1
	s_wait_alu 0xfffe
	s_add_co_i32 s4, s0, s1
	s_lshl_b64 s[0:1], s[2:3], 2
	s_lshr_b32 s2, s4, 20
	s_wait_alu 0xfffe
	s_add_nc_u64 s[0:1], s[6:7], s[0:1]
	s_mul_i32 s3, s2, s10
	s_load_b32 s11, s[0:1], 0x0
	s_sub_co_i32 s0, 0x1000, s3
	s_add_co_i32 s1, s2, 1
	s_wait_alu 0xfffe
	s_sub_co_i32 s3, s0, s10
	s_cmp_ge_u32 s0, s10
	s_cselect_b32 s1, s1, s2
	s_cselect_b32 s0, s3, s0
	s_wait_alu 0xfffe
	s_add_co_i32 s2, s1, 1
	s_cmp_ge_u32 s0, s10
	s_cselect_b32 s14, s2, s1
	s_delay_alu instid0(SALU_CYCLE_1)
	s_add_co_i32 s14, s14, 1
	s_branch .LBB178_2
.LBB178_1:                              ;   in Loop: Header=BB178_2 Depth=1
	s_wait_alu 0xfffe
	s_or_b32 exec_lo, exec_lo, s0
	v_add_f64_e64 v[53:54], v[31:32], -v[1:2]
	v_add_f64_e64 v[55:56], v[1:2], -v[3:4]
	;; [unrolled: 1-line block ×15, first 2 shown]
	s_wait_dscnt 0x0
	v_add_f64_e64 v[33:34], v[29:30], -v[33:34]
	s_wait_kmcnt 0x0
	v_cmp_gt_u32_e64 s0, s11, v37
	v_cmp_gt_u32_e64 s1, s11, v38
	;; [unrolled: 1-line block ×8, first 2 shown]
	s_add_co_i32 s10, s10, -1
	s_wait_loadcnt 0x0
	s_barrier_signal -1
	s_barrier_wait -1
	global_inv scope:SCOPE_SE
	v_cndmask_b32_e64 v54, v32, v54, s0
	v_cndmask_b32_e64 v53, v31, v53, s0
	;; [unrolled: 1-line block ×6, first 2 shown]
	v_cmp_gt_u32_e64 s0, s11, v45
	v_cmp_gt_u32_e64 s1, s11, v46
	;; [unrolled: 1-line block ×3, first 2 shown]
	v_cndmask_b32_e64 v60, v6, v60, s3
	v_cndmask_b32_e64 v59, v5, v59, s3
	;; [unrolled: 1-line block ×4, first 2 shown]
	s_wait_alu 0xf1ff
	v_cndmask_b32_e64 v70, v16, v70, s0
	v_cndmask_b32_e64 v69, v15, v69, s0
	;; [unrolled: 1-line block ×6, first 2 shown]
	v_cmp_gt_u32_e64 s0, s11, v48
	v_cmp_gt_u32_e64 s1, s11, v49
	;; [unrolled: 1-line block ×5, first 2 shown]
	v_cndmask_b32_e64 v64, v10, v64, s5
	v_cndmask_b32_e64 v63, v9, v63, s5
	;; [unrolled: 1-line block ×6, first 2 shown]
	s_wait_alu 0xf1ff
	v_cndmask_b32_e64 v76, v22, v76, s0
	v_cndmask_b32_e64 v78, v24, v78, s1
	;; [unrolled: 1-line block ×10, first 2 shown]
	v_add_f64_e32 v[29:30], v[29:30], v[33:34]
	v_add_f64_e32 v[27:28], v[27:28], v[81:82]
	;; [unrolled: 1-line block ×16, first 2 shown]
	s_add_co_i32 s0, s14, s11
	s_wait_alu 0xfffe
	s_and_b32 s11, s0, 0xfff
	s_cmp_lg_u32 s10, 0
	s_cbranch_scc0 .LBB178_4
.LBB178_2:                              ; =>This Inner Loop Header: Depth=1
	v_mov_b32_e32 v33, 0
	v_mov_b32_e32 v34, 0x405ec000
	s_wait_loadcnt 0x0
	ds_store_b64 v35, v[31:32]
	s_wait_dscnt 0x0
	s_barrier_signal -1
	s_barrier_wait -1
	global_inv scope:SCOPE_SE
	s_and_saveexec_b32 s0, vcc_lo
	s_cbranch_execz .LBB178_1
; %bb.3:                                ;   in Loop: Header=BB178_2 Depth=1
	ds_load_b64 v[33:34], v52
	s_branch .LBB178_1
.LBB178_4:
	v_lshlrev_b32_e32 v0, 3, v0
	s_add_nc_u64 s[0:1], s[8:9], s[12:13]
	s_clause 0xf
	global_store_b64 v0, v[29:30], s[0:1]
	global_store_b64 v0, v[27:28], s[0:1] offset:2048
	global_store_b64 v0, v[25:26], s[0:1] offset:4096
	;; [unrolled: 1-line block ×15, first 2 shown]
	s_endpgm
	.section	.rodata,"a",@progbits
	.p2align	6, 0x0
	.amdhsa_kernel _Z6kernelI26subtract_left_partial_tileLj256ELj16ELb1EJPdPiS1_jEEvDpT3_
		.amdhsa_group_segment_fixed_size 4096
		.amdhsa_private_segment_fixed_size 0
		.amdhsa_kernarg_size 28
		.amdhsa_user_sgpr_count 2
		.amdhsa_user_sgpr_dispatch_ptr 0
		.amdhsa_user_sgpr_queue_ptr 0
		.amdhsa_user_sgpr_kernarg_segment_ptr 1
		.amdhsa_user_sgpr_dispatch_id 0
		.amdhsa_user_sgpr_private_segment_size 0
		.amdhsa_wavefront_size32 1
		.amdhsa_uses_dynamic_stack 0
		.amdhsa_enable_private_segment 0
		.amdhsa_system_sgpr_workgroup_id_x 1
		.amdhsa_system_sgpr_workgroup_id_y 0
		.amdhsa_system_sgpr_workgroup_id_z 0
		.amdhsa_system_sgpr_workgroup_info 0
		.amdhsa_system_vgpr_workitem_id 0
		.amdhsa_next_free_vgpr 83
		.amdhsa_next_free_sgpr 15
		.amdhsa_reserve_vcc 1
		.amdhsa_float_round_mode_32 0
		.amdhsa_float_round_mode_16_64 0
		.amdhsa_float_denorm_mode_32 3
		.amdhsa_float_denorm_mode_16_64 3
		.amdhsa_fp16_overflow 0
		.amdhsa_workgroup_processor_mode 1
		.amdhsa_memory_ordered 1
		.amdhsa_forward_progress 1
		.amdhsa_inst_pref_size 11
		.amdhsa_round_robin_scheduling 0
		.amdhsa_exception_fp_ieee_invalid_op 0
		.amdhsa_exception_fp_denorm_src 0
		.amdhsa_exception_fp_ieee_div_zero 0
		.amdhsa_exception_fp_ieee_overflow 0
		.amdhsa_exception_fp_ieee_underflow 0
		.amdhsa_exception_fp_ieee_inexact 0
		.amdhsa_exception_int_div_zero 0
	.end_amdhsa_kernel
	.section	.text._Z6kernelI26subtract_left_partial_tileLj256ELj16ELb1EJPdPiS1_jEEvDpT3_,"axG",@progbits,_Z6kernelI26subtract_left_partial_tileLj256ELj16ELb1EJPdPiS1_jEEvDpT3_,comdat
.Lfunc_end178:
	.size	_Z6kernelI26subtract_left_partial_tileLj256ELj16ELb1EJPdPiS1_jEEvDpT3_, .Lfunc_end178-_Z6kernelI26subtract_left_partial_tileLj256ELj16ELb1EJPdPiS1_jEEvDpT3_
                                        ; -- End function
	.set _Z6kernelI26subtract_left_partial_tileLj256ELj16ELb1EJPdPiS1_jEEvDpT3_.num_vgpr, 83
	.set _Z6kernelI26subtract_left_partial_tileLj256ELj16ELb1EJPdPiS1_jEEvDpT3_.num_agpr, 0
	.set _Z6kernelI26subtract_left_partial_tileLj256ELj16ELb1EJPdPiS1_jEEvDpT3_.numbered_sgpr, 15
	.set _Z6kernelI26subtract_left_partial_tileLj256ELj16ELb1EJPdPiS1_jEEvDpT3_.num_named_barrier, 0
	.set _Z6kernelI26subtract_left_partial_tileLj256ELj16ELb1EJPdPiS1_jEEvDpT3_.private_seg_size, 0
	.set _Z6kernelI26subtract_left_partial_tileLj256ELj16ELb1EJPdPiS1_jEEvDpT3_.uses_vcc, 1
	.set _Z6kernelI26subtract_left_partial_tileLj256ELj16ELb1EJPdPiS1_jEEvDpT3_.uses_flat_scratch, 0
	.set _Z6kernelI26subtract_left_partial_tileLj256ELj16ELb1EJPdPiS1_jEEvDpT3_.has_dyn_sized_stack, 0
	.set _Z6kernelI26subtract_left_partial_tileLj256ELj16ELb1EJPdPiS1_jEEvDpT3_.has_recursion, 0
	.set _Z6kernelI26subtract_left_partial_tileLj256ELj16ELb1EJPdPiS1_jEEvDpT3_.has_indirect_call, 0
	.section	.AMDGPU.csdata,"",@progbits
; Kernel info:
; codeLenInByte = 1400
; TotalNumSgprs: 17
; NumVgprs: 83
; ScratchSize: 0
; MemoryBound: 0
; FloatMode: 240
; IeeeMode: 1
; LDSByteSize: 4096 bytes/workgroup (compile time only)
; SGPRBlocks: 0
; VGPRBlocks: 10
; NumSGPRsForWavesPerEU: 17
; NumVGPRsForWavesPerEU: 83
; Occupancy: 16
; WaveLimiterHint : 1
; COMPUTE_PGM_RSRC2:SCRATCH_EN: 0
; COMPUTE_PGM_RSRC2:USER_SGPR: 2
; COMPUTE_PGM_RSRC2:TRAP_HANDLER: 0
; COMPUTE_PGM_RSRC2:TGID_X_EN: 1
; COMPUTE_PGM_RSRC2:TGID_Y_EN: 0
; COMPUTE_PGM_RSRC2:TGID_Z_EN: 0
; COMPUTE_PGM_RSRC2:TIDIG_COMP_CNT: 0
	.section	.text._Z6kernelI26subtract_left_partial_tileLj256ELj32ELb1EJPdPiS1_jEEvDpT3_,"axG",@progbits,_Z6kernelI26subtract_left_partial_tileLj256ELj32ELb1EJPdPiS1_jEEvDpT3_,comdat
	.protected	_Z6kernelI26subtract_left_partial_tileLj256ELj32ELb1EJPdPiS1_jEEvDpT3_ ; -- Begin function _Z6kernelI26subtract_left_partial_tileLj256ELj32ELb1EJPdPiS1_jEEvDpT3_
	.globl	_Z6kernelI26subtract_left_partial_tileLj256ELj32ELb1EJPdPiS1_jEEvDpT3_
	.p2align	8
	.type	_Z6kernelI26subtract_left_partial_tileLj256ELj32ELb1EJPdPiS1_jEEvDpT3_,@function
_Z6kernelI26subtract_left_partial_tileLj256ELj32ELb1EJPdPiS1_jEEvDpT3_: ; @_Z6kernelI26subtract_left_partial_tileLj256ELj32ELb1EJPdPiS1_jEEvDpT3_
; %bb.0:
	s_clause 0x1
	s_load_b128 s[4:7], s[0:1], 0x0
	s_load_b96 s[8:10], s[0:1], 0x10
	s_lshl_b32 s2, ttmp9, 13
	s_mov_b32 s3, 0
	v_lshlrev_b32_e32 v67, 3, v0
	s_lshl_b64 s[12:13], s[2:3], 3
	s_mov_b32 s2, ttmp9
	v_lshlrev_b32_e32 v68, 5, v0
	v_cmp_ne_u32_e32 vcc_lo, 0, v0
	v_add_nc_u32_e32 v80, -8, v67
	s_delay_alu instid0(VALU_DEP_3)
	v_or_b32_e32 v69, 11, v68
	v_or_b32_e32 v70, 10, v68
	;; [unrolled: 1-line block ×8, first 2 shown]
	s_wait_kmcnt 0x0
	s_add_nc_u64 s[0:1], s[4:5], s[12:13]
	v_or_b32_e32 v77, 3, v68
	s_clause 0x1f
	global_load_b64 v[61:62], v67, s[0:1]
	global_load_b64 v[59:60], v67, s[0:1] offset:2048
	global_load_b64 v[57:58], v67, s[0:1] offset:4096
	;; [unrolled: 1-line block ×31, first 2 shown]
	s_cvt_f32_u32 s0, s10
	s_sub_co_i32 s1, 0, s10
	v_or_b32_e32 v78, 2, v68
	v_or_b32_e32 v79, 1, v68
	v_rcp_iflag_f32_e32 v65, s0
	s_mov_b32 s14, s8
	s_mov_b32 s15, s9
	s_delay_alu instid0(TRANS32_DEP_1) | instskip(SKIP_2) | instid1(SALU_CYCLE_2)
	v_readfirstlane_b32 s0, v65
	s_mul_f32 s0, s0, 0x4f7ffffe
	s_wait_alu 0xfffe
	s_cvt_u32_f32 s0, s0
	s_wait_alu 0xfffe
	s_delay_alu instid0(SALU_CYCLE_2)
	s_mul_i32 s1, s1, s0
	s_wait_alu 0xfffe
	s_mul_hi_u32 s1, s0, s1
	s_wait_alu 0xfffe
	s_add_co_i32 s0, s0, s1
	s_wait_alu 0xfffe
	s_lshr_b32 s4, s0, 19
	s_lshl_b64 s[0:1], s[2:3], 2
	s_mul_i32 s2, s4, s10
	s_wait_alu 0xfffe
	s_add_nc_u64 s[0:1], s[6:7], s[0:1]
	s_sub_co_i32 s2, 0x2000, s2
	s_load_b32 s11, s[0:1], 0x0
	s_add_co_i32 s3, s4, 1
	s_sub_co_i32 s5, s2, s10
	s_cmp_ge_u32 s2, s10
	s_cselect_b32 s3, s3, s4
	s_cselect_b32 s2, s5, s2
	s_add_co_i32 s0, s3, 1
	s_cmp_ge_u32 s2, s10
	s_wait_alu 0xfffe
	s_cselect_b32 s0, s0, s3
	s_wait_alu 0xfffe
	s_add_co_i32 s9, s0, 1
	s_branch .LBB179_2
.LBB179_1:                              ;   in Loop: Header=BB179_2 Depth=1
	s_wait_alu 0xfffe
	s_or_b32 exec_lo, exec_lo, s0
	v_add_f64_e64 v[81:82], v[63:64], -v[1:2]
	v_add_f64_e64 v[83:84], v[1:2], -v[3:4]
	;; [unrolled: 1-line block ×8, first 2 shown]
	v_or_b32_e32 v113, 31, v68
	v_or_b32_e32 v114, 30, v68
	;; [unrolled: 1-line block ×4, first 2 shown]
	v_add_f64_e64 v[111:112], v[29:30], -v[31:32]
	v_or_b32_e32 v117, 27, v68
	v_or_b32_e32 v118, 26, v68
	s_wait_kmcnt 0x0
	v_cmp_gt_u32_e64 s0, s11, v113
	v_cmp_gt_u32_e64 s1, s11, v114
	;; [unrolled: 1-line block ×4, first 2 shown]
	v_add_f64_e64 v[113:114], v[31:32], -v[33:34]
	v_add_f64_e64 v[115:116], v[33:34], -v[35:36]
	v_or_b32_e32 v119, 25, v68
	v_cmp_gt_u32_e64 s4, s11, v117
	v_cmp_gt_u32_e64 s5, s11, v118
	v_or_b32_e32 v117, 21, v68
	v_or_b32_e32 v118, 22, v68
	;; [unrolled: 1-line block ×4, first 2 shown]
	v_cmp_gt_u32_e64 s6, s11, v119
	v_or_b32_e32 v119, 20, v68
	v_or_b32_e32 v125, 17, v68
	v_cmp_gt_u32_e64 s7, s11, v120
	v_cmp_gt_u32_e64 s8, s11, v121
	v_or_b32_e32 v120, 19, v68
	v_add_f64_e64 v[121:122], v[39:40], -v[41:42]
	v_or_b32_e32 v123, 18, v68
	v_or_b32_e32 v133, 16, v68
	v_add_f64_e64 v[129:130], v[47:48], -v[49:50]
	s_wait_alu 0xf1ff
	v_cndmask_b32_e64 v82, v64, v82, s0
	v_cndmask_b32_e64 v81, v63, v81, s0
	;; [unrolled: 1-line block ×4, first 2 shown]
	v_cmp_gt_u32_e64 s0, s11, v117
	v_cmp_gt_u32_e64 s1, s11, v118
	v_add_f64_e64 v[117:118], v[35:36], -v[37:38]
	v_cndmask_b32_e64 v86, v4, v86, s2
	v_cndmask_b32_e64 v85, v3, v85, s2
	v_cmp_gt_u32_e64 s2, s11, v119
	s_wait_alu 0xf1ff
	v_cndmask_b32_e64 v100, v18, v100, s1
	v_cndmask_b32_e64 v99, v17, v99, s1
	v_cmp_gt_u32_e64 s1, s11, v120
	v_add_f64_e64 v[119:120], v[37:38], -v[39:40]
	v_cndmask_b32_e64 v104, v22, v104, s2
	v_cndmask_b32_e64 v103, v21, v103, s2
	v_cmp_gt_u32_e64 s2, s11, v125
	v_add_f64_e64 v[125:126], v[43:44], -v[45:46]
	;; [unrolled: 4-line block ×3, first 2 shown]
	v_or_b32_e32 v134, 15, v68
	v_add_f64_e64 v[109:110], v[27:28], -v[29:30]
	s_wait_alu 0xf1ff
	v_cndmask_b32_e64 v106, v24, v106, s1
	v_cndmask_b32_e64 v105, v23, v105, s1
	v_add_f64_e64 v[127:128], v[45:46], -v[47:48]
	v_cndmask_b32_e64 v108, v26, v108, s0
	v_cndmask_b32_e64 v107, v25, v107, s0
	v_cmp_gt_u32_e64 s0, s11, v133
	v_cmp_gt_u32_e64 s1, s11, v134
	v_or_b32_e32 v137, 14, v68
	v_add_f64_e64 v[133:134], v[51:52], -v[53:54]
	v_add_f64_e64 v[131:132], v[49:50], -v[51:52]
	s_wait_alu 0xf1ff
	v_cndmask_b32_e64 v112, v30, v112, s0
	v_cndmask_b32_e64 v111, v29, v111, s0
	v_add_f64_e64 v[135:136], v[55:56], -v[57:58]
	v_cmp_gt_u32_e64 s0, s11, v137
	v_or_b32_e32 v139, 13, v68
	s_wait_dscnt 0x0
	v_add_f64_e64 v[65:66], v[61:62], -v[65:66]
	v_or_b32_e32 v141, 12, v68
	v_add_f64_e64 v[87:88], v[5:6], -v[7:8]
	v_add_f64_e64 v[89:90], v[7:8], -v[9:10]
	;; [unrolled: 1-line block ×6, first 2 shown]
	v_cndmask_b32_e64 v114, v32, v114, s1
	v_cndmask_b32_e64 v113, v31, v113, s1
	s_wait_alu 0xf1ff
	v_cndmask_b32_e64 v116, v34, v116, s0
	v_cndmask_b32_e64 v115, v33, v115, s0
	v_add_f64_e64 v[137:138], v[59:60], -v[61:62]
	v_cmp_gt_u32_e64 s0, s11, v139
	v_add_f64_e64 v[139:140], v[57:58], -v[59:60]
	v_cmp_gt_u32_e64 s1, s11, v141
	v_add_f64_e64 v[141:142], v[53:54], -v[55:56]
	v_add_f64_e32 v[33:34], v[33:34], v[115:116]
	s_wait_alu 0xf1ff
	v_cndmask_b32_e64 v118, v36, v118, s0
	v_cndmask_b32_e64 v117, v35, v117, s0
	v_cmp_gt_u32_e64 s0, s11, v69
	v_cndmask_b32_e64 v120, v38, v120, s1
	v_cndmask_b32_e64 v119, v37, v119, s1
	v_cmp_gt_u32_e64 s1, s11, v70
	v_cndmask_b32_e64 v110, v28, v110, s2
	s_wait_alu 0xf1ff
	v_cndmask_b32_e64 v122, v40, v122, s0
	v_cndmask_b32_e64 v121, v39, v121, s0
	v_cmp_gt_u32_e64 s0, s11, v71
	v_cndmask_b32_e64 v124, v42, v124, s1
	v_cndmask_b32_e64 v123, v41, v123, s1
	v_cmp_gt_u32_e64 s1, s11, v72
	v_cndmask_b32_e64 v109, v27, v109, s2
	s_wait_alu 0xf1ff
	v_cndmask_b32_e64 v126, v44, v126, s0
	v_cndmask_b32_e64 v125, v43, v125, s0
	v_cmp_gt_u32_e64 s0, s11, v73
	v_cndmask_b32_e64 v128, v46, v128, s1
	v_cndmask_b32_e64 v127, v45, v127, s1
	v_cmp_gt_u32_e64 s1, s11, v74
	v_cmp_gt_u32_e64 s2, s11, v77
	s_wait_alu 0xf1ff
	v_cndmask_b32_e64 v130, v48, v130, s0
	v_cndmask_b32_e64 v129, v47, v129, s0
	v_cmp_gt_u32_e64 s0, s11, v75
	v_cndmask_b32_e64 v132, v50, v132, s1
	v_cndmask_b32_e64 v131, v49, v131, s1
	;; [unrolled: 1-line block ×4, first 2 shown]
	s_wait_alu 0xf1ff
	v_cndmask_b32_e64 v134, v52, v134, s0
	v_cndmask_b32_e64 v133, v51, v133, s0
	v_cmp_gt_u32_e64 s0, s11, v68
	v_cmp_gt_u32_e64 s1, s11, v79
	;; [unrolled: 1-line block ×3, first 2 shown]
	v_cndmask_b32_e64 v88, v6, v88, s3
	v_cndmask_b32_e64 v87, v5, v87, s3
	s_wait_alu 0xf1ff
	v_cndmask_b32_e64 v66, v62, v66, s0
	v_cndmask_b32_e64 v65, v61, v65, s0
	v_cmp_gt_u32_e64 s0, s11, v76
	v_cndmask_b32_e64 v90, v8, v90, s4
	v_cndmask_b32_e64 v89, v7, v89, s4
	;; [unrolled: 1-line block ×14, first 2 shown]
	s_wait_alu 0xf1ff
	v_cndmask_b32_e64 v142, v54, v142, s0
	v_cndmask_b32_e64 v141, v53, v141, s0
	v_add_f64_e32 v[61:62], v[61:62], v[65:66]
	v_add_f64_e32 v[59:60], v[59:60], v[137:138]
	;; [unrolled: 1-line block ×31, first 2 shown]
	s_add_co_i32 s0, s9, s11
	s_add_co_i32 s10, s10, -1
	s_wait_alu 0xfffe
	s_and_b32 s11, s0, 0x1fff
	s_cmp_lg_u32 s10, 0
	s_wait_loadcnt 0x0
	s_barrier_signal -1
	s_barrier_wait -1
	global_inv scope:SCOPE_SE
	s_cbranch_scc0 .LBB179_4
.LBB179_2:                              ; =>This Inner Loop Header: Depth=1
	v_mov_b32_e32 v65, 0
	v_mov_b32_e32 v66, 0x405ec000
	s_wait_loadcnt 0x0
	ds_store_b64 v67, v[63:64]
	s_wait_dscnt 0x0
	s_barrier_signal -1
	s_barrier_wait -1
	global_inv scope:SCOPE_SE
	s_and_saveexec_b32 s0, vcc_lo
	s_cbranch_execz .LBB179_1
; %bb.3:                                ;   in Loop: Header=BB179_2 Depth=1
	ds_load_b64 v[65:66], v80
	s_branch .LBB179_1
.LBB179_4:
	v_lshlrev_b32_e32 v0, 3, v0
	s_add_nc_u64 s[0:1], s[14:15], s[12:13]
	s_clause 0x1f
	global_store_b64 v0, v[61:62], s[0:1]
	global_store_b64 v0, v[59:60], s[0:1] offset:2048
	global_store_b64 v0, v[57:58], s[0:1] offset:4096
	;; [unrolled: 1-line block ×31, first 2 shown]
	s_nop 0
	s_sendmsg sendmsg(MSG_DEALLOC_VGPRS)
	s_endpgm
	.section	.rodata,"a",@progbits
	.p2align	6, 0x0
	.amdhsa_kernel _Z6kernelI26subtract_left_partial_tileLj256ELj32ELb1EJPdPiS1_jEEvDpT3_
		.amdhsa_group_segment_fixed_size 4096
		.amdhsa_private_segment_fixed_size 0
		.amdhsa_kernarg_size 28
		.amdhsa_user_sgpr_count 2
		.amdhsa_user_sgpr_dispatch_ptr 0
		.amdhsa_user_sgpr_queue_ptr 0
		.amdhsa_user_sgpr_kernarg_segment_ptr 1
		.amdhsa_user_sgpr_dispatch_id 0
		.amdhsa_user_sgpr_private_segment_size 0
		.amdhsa_wavefront_size32 1
		.amdhsa_uses_dynamic_stack 0
		.amdhsa_enable_private_segment 0
		.amdhsa_system_sgpr_workgroup_id_x 1
		.amdhsa_system_sgpr_workgroup_id_y 0
		.amdhsa_system_sgpr_workgroup_id_z 0
		.amdhsa_system_sgpr_workgroup_info 0
		.amdhsa_system_vgpr_workitem_id 0
		.amdhsa_next_free_vgpr 143
		.amdhsa_next_free_sgpr 16
		.amdhsa_reserve_vcc 1
		.amdhsa_float_round_mode_32 0
		.amdhsa_float_round_mode_16_64 0
		.amdhsa_float_denorm_mode_32 3
		.amdhsa_float_denorm_mode_16_64 3
		.amdhsa_fp16_overflow 0
		.amdhsa_workgroup_processor_mode 1
		.amdhsa_memory_ordered 1
		.amdhsa_forward_progress 1
		.amdhsa_inst_pref_size 20
		.amdhsa_round_robin_scheduling 0
		.amdhsa_exception_fp_ieee_invalid_op 0
		.amdhsa_exception_fp_denorm_src 0
		.amdhsa_exception_fp_ieee_div_zero 0
		.amdhsa_exception_fp_ieee_overflow 0
		.amdhsa_exception_fp_ieee_underflow 0
		.amdhsa_exception_fp_ieee_inexact 0
		.amdhsa_exception_int_div_zero 0
	.end_amdhsa_kernel
	.section	.text._Z6kernelI26subtract_left_partial_tileLj256ELj32ELb1EJPdPiS1_jEEvDpT3_,"axG",@progbits,_Z6kernelI26subtract_left_partial_tileLj256ELj32ELb1EJPdPiS1_jEEvDpT3_,comdat
.Lfunc_end179:
	.size	_Z6kernelI26subtract_left_partial_tileLj256ELj32ELb1EJPdPiS1_jEEvDpT3_, .Lfunc_end179-_Z6kernelI26subtract_left_partial_tileLj256ELj32ELb1EJPdPiS1_jEEvDpT3_
                                        ; -- End function
	.set _Z6kernelI26subtract_left_partial_tileLj256ELj32ELb1EJPdPiS1_jEEvDpT3_.num_vgpr, 143
	.set _Z6kernelI26subtract_left_partial_tileLj256ELj32ELb1EJPdPiS1_jEEvDpT3_.num_agpr, 0
	.set _Z6kernelI26subtract_left_partial_tileLj256ELj32ELb1EJPdPiS1_jEEvDpT3_.numbered_sgpr, 16
	.set _Z6kernelI26subtract_left_partial_tileLj256ELj32ELb1EJPdPiS1_jEEvDpT3_.num_named_barrier, 0
	.set _Z6kernelI26subtract_left_partial_tileLj256ELj32ELb1EJPdPiS1_jEEvDpT3_.private_seg_size, 0
	.set _Z6kernelI26subtract_left_partial_tileLj256ELj32ELb1EJPdPiS1_jEEvDpT3_.uses_vcc, 1
	.set _Z6kernelI26subtract_left_partial_tileLj256ELj32ELb1EJPdPiS1_jEEvDpT3_.uses_flat_scratch, 0
	.set _Z6kernelI26subtract_left_partial_tileLj256ELj32ELb1EJPdPiS1_jEEvDpT3_.has_dyn_sized_stack, 0
	.set _Z6kernelI26subtract_left_partial_tileLj256ELj32ELb1EJPdPiS1_jEEvDpT3_.has_recursion, 0
	.set _Z6kernelI26subtract_left_partial_tileLj256ELj32ELb1EJPdPiS1_jEEvDpT3_.has_indirect_call, 0
	.section	.AMDGPU.csdata,"",@progbits
; Kernel info:
; codeLenInByte = 2480
; TotalNumSgprs: 18
; NumVgprs: 143
; ScratchSize: 0
; MemoryBound: 0
; FloatMode: 240
; IeeeMode: 1
; LDSByteSize: 4096 bytes/workgroup (compile time only)
; SGPRBlocks: 0
; VGPRBlocks: 17
; NumSGPRsForWavesPerEU: 18
; NumVGPRsForWavesPerEU: 143
; Occupancy: 10
; WaveLimiterHint : 1
; COMPUTE_PGM_RSRC2:SCRATCH_EN: 0
; COMPUTE_PGM_RSRC2:USER_SGPR: 2
; COMPUTE_PGM_RSRC2:TRAP_HANDLER: 0
; COMPUTE_PGM_RSRC2:TGID_X_EN: 1
; COMPUTE_PGM_RSRC2:TGID_Y_EN: 0
; COMPUTE_PGM_RSRC2:TGID_Z_EN: 0
; COMPUTE_PGM_RSRC2:TIDIG_COMP_CNT: 0
	.section	.text._Z6kernelI27subtract_right_partial_tileLj256ELj1ELb0EJPiS1_S1_jEEvDpT3_,"axG",@progbits,_Z6kernelI27subtract_right_partial_tileLj256ELj1ELb0EJPiS1_S1_jEEvDpT3_,comdat
	.protected	_Z6kernelI27subtract_right_partial_tileLj256ELj1ELb0EJPiS1_S1_jEEvDpT3_ ; -- Begin function _Z6kernelI27subtract_right_partial_tileLj256ELj1ELb0EJPiS1_S1_jEEvDpT3_
	.globl	_Z6kernelI27subtract_right_partial_tileLj256ELj1ELb0EJPiS1_S1_jEEvDpT3_
	.p2align	8
	.type	_Z6kernelI27subtract_right_partial_tileLj256ELj1ELb0EJPiS1_S1_jEEvDpT3_,@function
_Z6kernelI27subtract_right_partial_tileLj256ELj1ELb0EJPiS1_S1_jEEvDpT3_: ; @_Z6kernelI27subtract_right_partial_tileLj256ELj1ELb0EJPiS1_S1_jEEvDpT3_
; %bb.0:
	s_load_b128 s[8:11], s[0:1], 0x0
	s_lshl_b32 s6, ttmp9, 8
	s_mov_b32 s7, 0
	v_lshlrev_b32_e32 v2, 2, v0
	s_lshl_b64 s[4:5], s[6:7], 2
	s_load_b96 s[0:2], s[0:1], 0x10
	s_mov_b32 s6, ttmp9
	s_delay_alu instid0(SALU_CYCLE_1)
	s_lshl_b64 s[6:7], s[6:7], 2
	s_wait_kmcnt 0x0
	s_add_nc_u64 s[8:9], s[8:9], s[4:5]
	s_add_nc_u64 s[6:7], s[10:11], s[6:7]
	global_load_b32 v1, v2, s[8:9]
	s_cvt_f32_u32 s3, s2
	s_delay_alu instid0(SALU_CYCLE_3) | instskip(NEXT) | instid1(TRANS32_DEP_1)
	v_rcp_iflag_f32_e32 v3, s3
	v_readfirstlane_b32 s3, v3
	v_add_nc_u32_e32 v3, 1, v0
	s_mul_f32 s3, s3, 0x4f7ffffe
	s_wait_alu 0xfffe
	s_delay_alu instid0(SALU_CYCLE_2) | instskip(SKIP_2) | instid1(SALU_CYCLE_1)
	s_cvt_u32_f32 s8, s3
	s_sub_co_i32 s3, 0, s2
	s_wait_alu 0xfffe
	s_mul_i32 s3, s3, s8
	s_wait_alu 0xfffe
	s_mul_hi_u32 s9, s8, s3
	s_load_b32 s3, s[6:7], 0x0
	s_add_co_i32 s8, s8, s9
	s_delay_alu instid0(SALU_CYCLE_1) | instskip(NEXT) | instid1(SALU_CYCLE_1)
	s_lshr_b32 s6, s8, 24
	s_mul_i32 s7, s6, s2
	s_add_co_i32 s8, s6, 1
	s_sub_co_i32 s7, 0x100, s7
	s_delay_alu instid0(SALU_CYCLE_1)
	s_sub_co_i32 s9, s7, s2
	s_cmp_ge_u32 s7, s2
	s_cselect_b32 s6, s8, s6
	s_cselect_b32 s7, s9, s7
	s_add_co_i32 s8, s6, 1
	s_cmp_ge_u32 s7, s2
	s_cselect_b32 s6, s8, s6
	s_delay_alu instid0(SALU_CYCLE_1)
	s_add_co_i32 s6, s6, 1
	s_branch .LBB180_2
.LBB180_1:                              ;   in Loop: Header=BB180_2 Depth=1
	s_or_b32 exec_lo, exec_lo, s7
	s_add_co_i32 s3, s6, s3
	s_delay_alu instid0(VALU_DEP_1)
	v_add_nc_u32_e32 v1, v4, v1
	s_add_co_i32 s2, s2, -1
	s_wait_alu 0xfffe
	s_and_b32 s3, s3, 0xff
	s_cmp_lg_u32 s2, 0
	s_wait_loadcnt 0x0
	s_barrier_signal -1
	s_barrier_wait -1
	global_inv scope:SCOPE_SE
	s_cbranch_scc0 .LBB180_4
.LBB180_2:                              ; =>This Inner Loop Header: Depth=1
	s_wait_loadcnt 0x0
	v_mov_b32_e32 v4, v1
	s_mov_b32 s7, exec_lo
	ds_store_b32 v2, v1 offset:1024
	s_wait_dscnt 0x0
	s_barrier_signal -1
	s_barrier_wait -1
	global_inv scope:SCOPE_SE
	s_wait_kmcnt 0x0
	s_wait_alu 0xfffe
	v_cmpx_gt_u32_e64 s3, v3
	s_cbranch_execz .LBB180_1
; %bb.3:                                ;   in Loop: Header=BB180_2 Depth=1
	ds_load_b32 v4, v2 offset:1028
	s_wait_dscnt 0x0
	v_sub_nc_u32_e32 v4, v1, v4
	s_branch .LBB180_1
.LBB180_4:
	v_lshlrev_b32_e32 v0, 2, v0
	s_add_nc_u64 s[0:1], s[0:1], s[4:5]
	global_store_b32 v0, v1, s[0:1]
	s_endpgm
	.section	.rodata,"a",@progbits
	.p2align	6, 0x0
	.amdhsa_kernel _Z6kernelI27subtract_right_partial_tileLj256ELj1ELb0EJPiS1_S1_jEEvDpT3_
		.amdhsa_group_segment_fixed_size 2048
		.amdhsa_private_segment_fixed_size 0
		.amdhsa_kernarg_size 28
		.amdhsa_user_sgpr_count 2
		.amdhsa_user_sgpr_dispatch_ptr 0
		.amdhsa_user_sgpr_queue_ptr 0
		.amdhsa_user_sgpr_kernarg_segment_ptr 1
		.amdhsa_user_sgpr_dispatch_id 0
		.amdhsa_user_sgpr_private_segment_size 0
		.amdhsa_wavefront_size32 1
		.amdhsa_uses_dynamic_stack 0
		.amdhsa_enable_private_segment 0
		.amdhsa_system_sgpr_workgroup_id_x 1
		.amdhsa_system_sgpr_workgroup_id_y 0
		.amdhsa_system_sgpr_workgroup_id_z 0
		.amdhsa_system_sgpr_workgroup_info 0
		.amdhsa_system_vgpr_workitem_id 0
		.amdhsa_next_free_vgpr 5
		.amdhsa_next_free_sgpr 12
		.amdhsa_reserve_vcc 0
		.amdhsa_float_round_mode_32 0
		.amdhsa_float_round_mode_16_64 0
		.amdhsa_float_denorm_mode_32 3
		.amdhsa_float_denorm_mode_16_64 3
		.amdhsa_fp16_overflow 0
		.amdhsa_workgroup_processor_mode 1
		.amdhsa_memory_ordered 1
		.amdhsa_forward_progress 1
		.amdhsa_inst_pref_size 3
		.amdhsa_round_robin_scheduling 0
		.amdhsa_exception_fp_ieee_invalid_op 0
		.amdhsa_exception_fp_denorm_src 0
		.amdhsa_exception_fp_ieee_div_zero 0
		.amdhsa_exception_fp_ieee_overflow 0
		.amdhsa_exception_fp_ieee_underflow 0
		.amdhsa_exception_fp_ieee_inexact 0
		.amdhsa_exception_int_div_zero 0
	.end_amdhsa_kernel
	.section	.text._Z6kernelI27subtract_right_partial_tileLj256ELj1ELb0EJPiS1_S1_jEEvDpT3_,"axG",@progbits,_Z6kernelI27subtract_right_partial_tileLj256ELj1ELb0EJPiS1_S1_jEEvDpT3_,comdat
.Lfunc_end180:
	.size	_Z6kernelI27subtract_right_partial_tileLj256ELj1ELb0EJPiS1_S1_jEEvDpT3_, .Lfunc_end180-_Z6kernelI27subtract_right_partial_tileLj256ELj1ELb0EJPiS1_S1_jEEvDpT3_
                                        ; -- End function
	.set _Z6kernelI27subtract_right_partial_tileLj256ELj1ELb0EJPiS1_S1_jEEvDpT3_.num_vgpr, 5
	.set _Z6kernelI27subtract_right_partial_tileLj256ELj1ELb0EJPiS1_S1_jEEvDpT3_.num_agpr, 0
	.set _Z6kernelI27subtract_right_partial_tileLj256ELj1ELb0EJPiS1_S1_jEEvDpT3_.numbered_sgpr, 12
	.set _Z6kernelI27subtract_right_partial_tileLj256ELj1ELb0EJPiS1_S1_jEEvDpT3_.num_named_barrier, 0
	.set _Z6kernelI27subtract_right_partial_tileLj256ELj1ELb0EJPiS1_S1_jEEvDpT3_.private_seg_size, 0
	.set _Z6kernelI27subtract_right_partial_tileLj256ELj1ELb0EJPiS1_S1_jEEvDpT3_.uses_vcc, 0
	.set _Z6kernelI27subtract_right_partial_tileLj256ELj1ELb0EJPiS1_S1_jEEvDpT3_.uses_flat_scratch, 0
	.set _Z6kernelI27subtract_right_partial_tileLj256ELj1ELb0EJPiS1_S1_jEEvDpT3_.has_dyn_sized_stack, 0
	.set _Z6kernelI27subtract_right_partial_tileLj256ELj1ELb0EJPiS1_S1_jEEvDpT3_.has_recursion, 0
	.set _Z6kernelI27subtract_right_partial_tileLj256ELj1ELb0EJPiS1_S1_jEEvDpT3_.has_indirect_call, 0
	.section	.AMDGPU.csdata,"",@progbits
; Kernel info:
; codeLenInByte = 380
; TotalNumSgprs: 12
; NumVgprs: 5
; ScratchSize: 0
; MemoryBound: 0
; FloatMode: 240
; IeeeMode: 1
; LDSByteSize: 2048 bytes/workgroup (compile time only)
; SGPRBlocks: 0
; VGPRBlocks: 0
; NumSGPRsForWavesPerEU: 12
; NumVGPRsForWavesPerEU: 5
; Occupancy: 16
; WaveLimiterHint : 0
; COMPUTE_PGM_RSRC2:SCRATCH_EN: 0
; COMPUTE_PGM_RSRC2:USER_SGPR: 2
; COMPUTE_PGM_RSRC2:TRAP_HANDLER: 0
; COMPUTE_PGM_RSRC2:TGID_X_EN: 1
; COMPUTE_PGM_RSRC2:TGID_Y_EN: 0
; COMPUTE_PGM_RSRC2:TGID_Z_EN: 0
; COMPUTE_PGM_RSRC2:TIDIG_COMP_CNT: 0
	.section	.text._Z6kernelI27subtract_right_partial_tileLj256ELj3ELb0EJPiS1_S1_jEEvDpT3_,"axG",@progbits,_Z6kernelI27subtract_right_partial_tileLj256ELj3ELb0EJPiS1_S1_jEEvDpT3_,comdat
	.protected	_Z6kernelI27subtract_right_partial_tileLj256ELj3ELb0EJPiS1_S1_jEEvDpT3_ ; -- Begin function _Z6kernelI27subtract_right_partial_tileLj256ELj3ELb0EJPiS1_S1_jEEvDpT3_
	.globl	_Z6kernelI27subtract_right_partial_tileLj256ELj3ELb0EJPiS1_S1_jEEvDpT3_
	.p2align	8
	.type	_Z6kernelI27subtract_right_partial_tileLj256ELj3ELb0EJPiS1_S1_jEEvDpT3_,@function
_Z6kernelI27subtract_right_partial_tileLj256ELj3ELb0EJPiS1_S1_jEEvDpT3_: ; @_Z6kernelI27subtract_right_partial_tileLj256ELj3ELb0EJPiS1_S1_jEEvDpT3_
; %bb.0:
	s_load_b128 s[8:11], s[0:1], 0x0
	s_mul_i32 s6, ttmp9, 0x300
	s_mov_b32 s7, 0
	v_lshlrev_b32_e32 v4, 2, v0
	s_lshl_b64 s[4:5], s[6:7], 2
	s_load_b96 s[0:2], s[0:1], 0x10
	v_mad_u32_u24 v6, v0, 3, 2
	v_mad_u32_u24 v7, v0, 3, 3
	s_wait_kmcnt 0x0
	s_add_nc_u64 s[8:9], s[8:9], s[4:5]
	s_clause 0x2
	global_load_b32 v1, v4, s[8:9]
	global_load_b32 v2, v4, s[8:9] offset:1024
	global_load_b32 v3, v4, s[8:9] offset:2048
	s_cvt_f32_u32 s3, s2
	s_sub_co_i32 s6, 0, s2
	s_delay_alu instid0(SALU_CYCLE_2) | instskip(NEXT) | instid1(TRANS32_DEP_1)
	v_rcp_iflag_f32_e32 v5, s3
	v_readfirstlane_b32 s3, v5
	v_mad_u32_u24 v5, v0, 3, 1
	s_mul_f32 s3, s3, 0x4f7ffffe
	s_wait_alu 0xfffe
	s_delay_alu instid0(SALU_CYCLE_2) | instskip(SKIP_1) | instid1(SALU_CYCLE_2)
	s_cvt_u32_f32 s3, s3
	s_wait_alu 0xfffe
	s_mul_i32 s8, s6, s3
	s_mov_b32 s6, ttmp9
	s_mul_hi_u32 s8, s3, s8
	s_lshl_b64 s[6:7], s[6:7], 2
	s_add_co_i32 s8, s3, s8
	s_add_nc_u64 s[6:7], s[10:11], s[6:7]
	s_load_b32 s3, s[6:7], 0x0
	s_mul_hi_u32 s6, s8, 0x300
	s_delay_alu instid0(SALU_CYCLE_1) | instskip(SKIP_2) | instid1(SALU_CYCLE_1)
	s_mul_i32 s7, s6, s2
	s_add_co_i32 s8, s6, 1
	s_sub_co_i32 s7, 0x300, s7
	s_sub_co_i32 s9, s7, s2
	s_cmp_ge_u32 s7, s2
	s_cselect_b32 s6, s8, s6
	s_cselect_b32 s7, s9, s7
	s_add_co_i32 s8, s6, 1
	s_cmp_ge_u32 s7, s2
	s_cselect_b32 s6, s8, s6
	s_delay_alu instid0(SALU_CYCLE_1)
	s_add_co_i32 s6, s6, 1
	s_branch .LBB181_2
.LBB181_1:                              ;   in Loop: Header=BB181_2 Depth=1
	s_or_b32 exec_lo, exec_lo, s7
	s_add_co_i32 s3, s6, s3
	v_add_nc_u32_e32 v1, v8, v1
	s_wait_alu 0xfffe
	s_mul_hi_u32 s7, s3, 0xaaaaaaab
	v_add_nc_u32_e32 v2, v9, v2
	s_lshr_b32 s7, s7, 9
	v_add_nc_u32_e32 v3, v10, v3
	s_mulk_i32 s7, 0x300
	s_add_co_i32 s2, s2, -1
	s_sub_co_i32 s3, s3, s7
	s_wait_alu 0xfffe
	s_cmp_lg_u32 s2, 0
	s_wait_loadcnt 0x0
	s_barrier_signal -1
	s_barrier_wait -1
	global_inv scope:SCOPE_SE
	s_cbranch_scc0 .LBB181_4
.LBB181_2:                              ; =>This Inner Loop Header: Depth=1
	s_wait_loadcnt 0x1
	v_sub_nc_u32_e32 v8, v1, v2
	s_wait_kmcnt 0x0
	v_cmp_gt_u32_e32 vcc_lo, s3, v5
	s_wait_loadcnt 0x0
	v_sub_nc_u32_e32 v9, v2, v3
	v_mov_b32_e32 v10, v3
	s_mov_b32 s7, exec_lo
	ds_store_b32 v4, v1 offset:1024
	s_wait_alu 0xfffd
	v_cndmask_b32_e32 v8, v1, v8, vcc_lo
	v_cmp_gt_u32_e32 vcc_lo, s3, v6
	s_wait_dscnt 0x0
	s_barrier_signal -1
	s_barrier_wait -1
	global_inv scope:SCOPE_SE
	s_wait_alu 0xfffd
	v_cndmask_b32_e32 v9, v2, v9, vcc_lo
	v_cmpx_gt_u32_e64 s3, v7
	s_cbranch_execz .LBB181_1
; %bb.3:                                ;   in Loop: Header=BB181_2 Depth=1
	ds_load_b32 v10, v4 offset:1028
	s_wait_dscnt 0x0
	v_sub_nc_u32_e32 v10, v3, v10
	s_branch .LBB181_1
.LBB181_4:
	v_lshlrev_b32_e32 v0, 2, v0
	s_add_nc_u64 s[0:1], s[0:1], s[4:5]
	s_clause 0x2
	global_store_b32 v0, v1, s[0:1]
	global_store_b32 v0, v2, s[0:1] offset:1024
	global_store_b32 v0, v3, s[0:1] offset:2048
	s_endpgm
	.section	.rodata,"a",@progbits
	.p2align	6, 0x0
	.amdhsa_kernel _Z6kernelI27subtract_right_partial_tileLj256ELj3ELb0EJPiS1_S1_jEEvDpT3_
		.amdhsa_group_segment_fixed_size 2048
		.amdhsa_private_segment_fixed_size 0
		.amdhsa_kernarg_size 28
		.amdhsa_user_sgpr_count 2
		.amdhsa_user_sgpr_dispatch_ptr 0
		.amdhsa_user_sgpr_queue_ptr 0
		.amdhsa_user_sgpr_kernarg_segment_ptr 1
		.amdhsa_user_sgpr_dispatch_id 0
		.amdhsa_user_sgpr_private_segment_size 0
		.amdhsa_wavefront_size32 1
		.amdhsa_uses_dynamic_stack 0
		.amdhsa_enable_private_segment 0
		.amdhsa_system_sgpr_workgroup_id_x 1
		.amdhsa_system_sgpr_workgroup_id_y 0
		.amdhsa_system_sgpr_workgroup_id_z 0
		.amdhsa_system_sgpr_workgroup_info 0
		.amdhsa_system_vgpr_workitem_id 0
		.amdhsa_next_free_vgpr 11
		.amdhsa_next_free_sgpr 12
		.amdhsa_reserve_vcc 1
		.amdhsa_float_round_mode_32 0
		.amdhsa_float_round_mode_16_64 0
		.amdhsa_float_denorm_mode_32 3
		.amdhsa_float_denorm_mode_16_64 3
		.amdhsa_fp16_overflow 0
		.amdhsa_workgroup_processor_mode 1
		.amdhsa_memory_ordered 1
		.amdhsa_forward_progress 1
		.amdhsa_inst_pref_size 4
		.amdhsa_round_robin_scheduling 0
		.amdhsa_exception_fp_ieee_invalid_op 0
		.amdhsa_exception_fp_denorm_src 0
		.amdhsa_exception_fp_ieee_div_zero 0
		.amdhsa_exception_fp_ieee_overflow 0
		.amdhsa_exception_fp_ieee_underflow 0
		.amdhsa_exception_fp_ieee_inexact 0
		.amdhsa_exception_int_div_zero 0
	.end_amdhsa_kernel
	.section	.text._Z6kernelI27subtract_right_partial_tileLj256ELj3ELb0EJPiS1_S1_jEEvDpT3_,"axG",@progbits,_Z6kernelI27subtract_right_partial_tileLj256ELj3ELb0EJPiS1_S1_jEEvDpT3_,comdat
.Lfunc_end181:
	.size	_Z6kernelI27subtract_right_partial_tileLj256ELj3ELb0EJPiS1_S1_jEEvDpT3_, .Lfunc_end181-_Z6kernelI27subtract_right_partial_tileLj256ELj3ELb0EJPiS1_S1_jEEvDpT3_
                                        ; -- End function
	.set _Z6kernelI27subtract_right_partial_tileLj256ELj3ELb0EJPiS1_S1_jEEvDpT3_.num_vgpr, 11
	.set _Z6kernelI27subtract_right_partial_tileLj256ELj3ELb0EJPiS1_S1_jEEvDpT3_.num_agpr, 0
	.set _Z6kernelI27subtract_right_partial_tileLj256ELj3ELb0EJPiS1_S1_jEEvDpT3_.numbered_sgpr, 12
	.set _Z6kernelI27subtract_right_partial_tileLj256ELj3ELb0EJPiS1_S1_jEEvDpT3_.num_named_barrier, 0
	.set _Z6kernelI27subtract_right_partial_tileLj256ELj3ELb0EJPiS1_S1_jEEvDpT3_.private_seg_size, 0
	.set _Z6kernelI27subtract_right_partial_tileLj256ELj3ELb0EJPiS1_S1_jEEvDpT3_.uses_vcc, 1
	.set _Z6kernelI27subtract_right_partial_tileLj256ELj3ELb0EJPiS1_S1_jEEvDpT3_.uses_flat_scratch, 0
	.set _Z6kernelI27subtract_right_partial_tileLj256ELj3ELb0EJPiS1_S1_jEEvDpT3_.has_dyn_sized_stack, 0
	.set _Z6kernelI27subtract_right_partial_tileLj256ELj3ELb0EJPiS1_S1_jEEvDpT3_.has_recursion, 0
	.set _Z6kernelI27subtract_right_partial_tileLj256ELj3ELb0EJPiS1_S1_jEEvDpT3_.has_indirect_call, 0
	.section	.AMDGPU.csdata,"",@progbits
; Kernel info:
; codeLenInByte = 504
; TotalNumSgprs: 14
; NumVgprs: 11
; ScratchSize: 0
; MemoryBound: 0
; FloatMode: 240
; IeeeMode: 1
; LDSByteSize: 2048 bytes/workgroup (compile time only)
; SGPRBlocks: 0
; VGPRBlocks: 1
; NumSGPRsForWavesPerEU: 14
; NumVGPRsForWavesPerEU: 11
; Occupancy: 16
; WaveLimiterHint : 1
; COMPUTE_PGM_RSRC2:SCRATCH_EN: 0
; COMPUTE_PGM_RSRC2:USER_SGPR: 2
; COMPUTE_PGM_RSRC2:TRAP_HANDLER: 0
; COMPUTE_PGM_RSRC2:TGID_X_EN: 1
; COMPUTE_PGM_RSRC2:TGID_Y_EN: 0
; COMPUTE_PGM_RSRC2:TGID_Z_EN: 0
; COMPUTE_PGM_RSRC2:TIDIG_COMP_CNT: 0
	.section	.text._Z6kernelI27subtract_right_partial_tileLj256ELj4ELb0EJPiS1_S1_jEEvDpT3_,"axG",@progbits,_Z6kernelI27subtract_right_partial_tileLj256ELj4ELb0EJPiS1_S1_jEEvDpT3_,comdat
	.protected	_Z6kernelI27subtract_right_partial_tileLj256ELj4ELb0EJPiS1_S1_jEEvDpT3_ ; -- Begin function _Z6kernelI27subtract_right_partial_tileLj256ELj4ELb0EJPiS1_S1_jEEvDpT3_
	.globl	_Z6kernelI27subtract_right_partial_tileLj256ELj4ELb0EJPiS1_S1_jEEvDpT3_
	.p2align	8
	.type	_Z6kernelI27subtract_right_partial_tileLj256ELj4ELb0EJPiS1_S1_jEEvDpT3_,@function
_Z6kernelI27subtract_right_partial_tileLj256ELj4ELb0EJPiS1_S1_jEEvDpT3_: ; @_Z6kernelI27subtract_right_partial_tileLj256ELj4ELb0EJPiS1_S1_jEEvDpT3_
; %bb.0:
	s_load_b128 s[8:11], s[0:1], 0x0
	s_lshl_b32 s6, ttmp9, 10
	s_mov_b32 s7, 0
	v_lshlrev_b32_e32 v5, 2, v0
	s_lshl_b64 s[4:5], s[6:7], 2
	s_load_b96 s[0:2], s[0:1], 0x10
	s_delay_alu instid0(VALU_DEP_1)
	v_or_b32_e32 v7, 2, v5
	v_or_b32_e32 v8, 3, v5
	v_add_nc_u32_e32 v9, 4, v5
	s_wait_kmcnt 0x0
	s_add_nc_u64 s[8:9], s[8:9], s[4:5]
	s_clause 0x3
	global_load_b32 v1, v5, s[8:9]
	global_load_b32 v2, v5, s[8:9] offset:1024
	global_load_b32 v3, v5, s[8:9] offset:2048
	;; [unrolled: 1-line block ×3, first 2 shown]
	s_cvt_f32_u32 s3, s2
	s_sub_co_i32 s6, 0, s2
	s_delay_alu instid0(SALU_CYCLE_2) | instskip(NEXT) | instid1(TRANS32_DEP_1)
	v_rcp_iflag_f32_e32 v6, s3
	v_readfirstlane_b32 s3, v6
	v_or_b32_e32 v6, 1, v5
	s_mul_f32 s3, s3, 0x4f7ffffe
	s_wait_alu 0xfffe
	s_delay_alu instid0(SALU_CYCLE_2) | instskip(SKIP_1) | instid1(SALU_CYCLE_2)
	s_cvt_u32_f32 s3, s3
	s_wait_alu 0xfffe
	s_mul_i32 s6, s6, s3
	s_delay_alu instid0(SALU_CYCLE_1)
	s_mul_hi_u32 s8, s3, s6
	s_mov_b32 s6, ttmp9
	s_add_co_i32 s3, s3, s8
	s_lshl_b64 s[6:7], s[6:7], 2
	s_wait_alu 0xfffe
	s_lshr_b32 s8, s3, 22
	s_add_nc_u64 s[6:7], s[10:11], s[6:7]
	s_load_b32 s3, s[6:7], 0x0
	s_mul_i32 s6, s8, s2
	s_add_co_i32 s7, s8, 1
	s_sub_co_i32 s6, 0x400, s6
	s_delay_alu instid0(SALU_CYCLE_1)
	s_sub_co_i32 s9, s6, s2
	s_cmp_ge_u32 s6, s2
	s_cselect_b32 s7, s7, s8
	s_cselect_b32 s6, s9, s6
	s_add_co_i32 s8, s7, 1
	s_cmp_ge_u32 s6, s2
	s_cselect_b32 s6, s8, s7
	s_delay_alu instid0(SALU_CYCLE_1)
	s_add_co_i32 s6, s6, 1
	s_branch .LBB182_2
.LBB182_1:                              ;   in Loop: Header=BB182_2 Depth=1
	s_or_b32 exec_lo, exec_lo, s7
	v_add_nc_u32_e32 v1, v10, v1
	v_add_nc_u32_e32 v2, v11, v2
	;; [unrolled: 1-line block ×3, first 2 shown]
	s_add_co_i32 s3, s6, s3
	v_add_nc_u32_e32 v4, v13, v4
	s_add_co_i32 s2, s2, -1
	s_wait_alu 0xfffe
	s_and_b32 s3, s3, 0x3ff
	s_cmp_lg_u32 s2, 0
	s_wait_loadcnt 0x0
	s_barrier_signal -1
	s_barrier_wait -1
	global_inv scope:SCOPE_SE
	s_cbranch_scc0 .LBB182_4
.LBB182_2:                              ; =>This Inner Loop Header: Depth=1
	s_wait_loadcnt 0x2
	v_sub_nc_u32_e32 v10, v1, v2
	s_wait_kmcnt 0x0
	s_wait_alu 0xfffe
	v_cmp_gt_u32_e32 vcc_lo, s3, v6
	s_wait_loadcnt 0x1
	v_sub_nc_u32_e32 v11, v2, v3
	s_wait_loadcnt 0x0
	v_sub_nc_u32_e32 v12, v3, v4
	s_mov_b32 s7, exec_lo
	ds_store_b32 v5, v1 offset:1024
	s_wait_alu 0xfffd
	v_cndmask_b32_e32 v10, v1, v10, vcc_lo
	v_cmp_gt_u32_e32 vcc_lo, s3, v7
	s_wait_dscnt 0x0
	s_barrier_signal -1
	s_barrier_wait -1
	global_inv scope:SCOPE_SE
	s_wait_alu 0xfffd
	v_cndmask_b32_e32 v11, v2, v11, vcc_lo
	v_cmp_gt_u32_e32 vcc_lo, s3, v8
	s_wait_alu 0xfffd
	v_dual_mov_b32 v13, v4 :: v_dual_cndmask_b32 v12, v3, v12
	v_cmpx_gt_u32_e64 s3, v9
	s_cbranch_execz .LBB182_1
; %bb.3:                                ;   in Loop: Header=BB182_2 Depth=1
	ds_load_b32 v13, v5 offset:1028
	s_wait_dscnt 0x0
	v_sub_nc_u32_e32 v13, v4, v13
	s_branch .LBB182_1
.LBB182_4:
	v_lshlrev_b32_e32 v0, 2, v0
	s_add_nc_u64 s[0:1], s[0:1], s[4:5]
	s_clause 0x3
	global_store_b32 v0, v1, s[0:1]
	global_store_b32 v0, v2, s[0:1] offset:1024
	global_store_b32 v0, v3, s[0:1] offset:2048
	;; [unrolled: 1-line block ×3, first 2 shown]
	s_endpgm
	.section	.rodata,"a",@progbits
	.p2align	6, 0x0
	.amdhsa_kernel _Z6kernelI27subtract_right_partial_tileLj256ELj4ELb0EJPiS1_S1_jEEvDpT3_
		.amdhsa_group_segment_fixed_size 2048
		.amdhsa_private_segment_fixed_size 0
		.amdhsa_kernarg_size 28
		.amdhsa_user_sgpr_count 2
		.amdhsa_user_sgpr_dispatch_ptr 0
		.amdhsa_user_sgpr_queue_ptr 0
		.amdhsa_user_sgpr_kernarg_segment_ptr 1
		.amdhsa_user_sgpr_dispatch_id 0
		.amdhsa_user_sgpr_private_segment_size 0
		.amdhsa_wavefront_size32 1
		.amdhsa_uses_dynamic_stack 0
		.amdhsa_enable_private_segment 0
		.amdhsa_system_sgpr_workgroup_id_x 1
		.amdhsa_system_sgpr_workgroup_id_y 0
		.amdhsa_system_sgpr_workgroup_id_z 0
		.amdhsa_system_sgpr_workgroup_info 0
		.amdhsa_system_vgpr_workitem_id 0
		.amdhsa_next_free_vgpr 14
		.amdhsa_next_free_sgpr 12
		.amdhsa_reserve_vcc 1
		.amdhsa_float_round_mode_32 0
		.amdhsa_float_round_mode_16_64 0
		.amdhsa_float_denorm_mode_32 3
		.amdhsa_float_denorm_mode_16_64 3
		.amdhsa_fp16_overflow 0
		.amdhsa_workgroup_processor_mode 1
		.amdhsa_memory_ordered 1
		.amdhsa_forward_progress 1
		.amdhsa_inst_pref_size 5
		.amdhsa_round_robin_scheduling 0
		.amdhsa_exception_fp_ieee_invalid_op 0
		.amdhsa_exception_fp_denorm_src 0
		.amdhsa_exception_fp_ieee_div_zero 0
		.amdhsa_exception_fp_ieee_overflow 0
		.amdhsa_exception_fp_ieee_underflow 0
		.amdhsa_exception_fp_ieee_inexact 0
		.amdhsa_exception_int_div_zero 0
	.end_amdhsa_kernel
	.section	.text._Z6kernelI27subtract_right_partial_tileLj256ELj4ELb0EJPiS1_S1_jEEvDpT3_,"axG",@progbits,_Z6kernelI27subtract_right_partial_tileLj256ELj4ELb0EJPiS1_S1_jEEvDpT3_,comdat
.Lfunc_end182:
	.size	_Z6kernelI27subtract_right_partial_tileLj256ELj4ELb0EJPiS1_S1_jEEvDpT3_, .Lfunc_end182-_Z6kernelI27subtract_right_partial_tileLj256ELj4ELb0EJPiS1_S1_jEEvDpT3_
                                        ; -- End function
	.set _Z6kernelI27subtract_right_partial_tileLj256ELj4ELb0EJPiS1_S1_jEEvDpT3_.num_vgpr, 14
	.set _Z6kernelI27subtract_right_partial_tileLj256ELj4ELb0EJPiS1_S1_jEEvDpT3_.num_agpr, 0
	.set _Z6kernelI27subtract_right_partial_tileLj256ELj4ELb0EJPiS1_S1_jEEvDpT3_.numbered_sgpr, 12
	.set _Z6kernelI27subtract_right_partial_tileLj256ELj4ELb0EJPiS1_S1_jEEvDpT3_.num_named_barrier, 0
	.set _Z6kernelI27subtract_right_partial_tileLj256ELj4ELb0EJPiS1_S1_jEEvDpT3_.private_seg_size, 0
	.set _Z6kernelI27subtract_right_partial_tileLj256ELj4ELb0EJPiS1_S1_jEEvDpT3_.uses_vcc, 1
	.set _Z6kernelI27subtract_right_partial_tileLj256ELj4ELb0EJPiS1_S1_jEEvDpT3_.uses_flat_scratch, 0
	.set _Z6kernelI27subtract_right_partial_tileLj256ELj4ELb0EJPiS1_S1_jEEvDpT3_.has_dyn_sized_stack, 0
	.set _Z6kernelI27subtract_right_partial_tileLj256ELj4ELb0EJPiS1_S1_jEEvDpT3_.has_recursion, 0
	.set _Z6kernelI27subtract_right_partial_tileLj256ELj4ELb0EJPiS1_S1_jEEvDpT3_.has_indirect_call, 0
	.section	.AMDGPU.csdata,"",@progbits
; Kernel info:
; codeLenInByte = 536
; TotalNumSgprs: 14
; NumVgprs: 14
; ScratchSize: 0
; MemoryBound: 0
; FloatMode: 240
; IeeeMode: 1
; LDSByteSize: 2048 bytes/workgroup (compile time only)
; SGPRBlocks: 0
; VGPRBlocks: 1
; NumSGPRsForWavesPerEU: 14
; NumVGPRsForWavesPerEU: 14
; Occupancy: 16
; WaveLimiterHint : 1
; COMPUTE_PGM_RSRC2:SCRATCH_EN: 0
; COMPUTE_PGM_RSRC2:USER_SGPR: 2
; COMPUTE_PGM_RSRC2:TRAP_HANDLER: 0
; COMPUTE_PGM_RSRC2:TGID_X_EN: 1
; COMPUTE_PGM_RSRC2:TGID_Y_EN: 0
; COMPUTE_PGM_RSRC2:TGID_Z_EN: 0
; COMPUTE_PGM_RSRC2:TIDIG_COMP_CNT: 0
	.section	.text._Z6kernelI27subtract_right_partial_tileLj256ELj8ELb0EJPiS1_S1_jEEvDpT3_,"axG",@progbits,_Z6kernelI27subtract_right_partial_tileLj256ELj8ELb0EJPiS1_S1_jEEvDpT3_,comdat
	.protected	_Z6kernelI27subtract_right_partial_tileLj256ELj8ELb0EJPiS1_S1_jEEvDpT3_ ; -- Begin function _Z6kernelI27subtract_right_partial_tileLj256ELj8ELb0EJPiS1_S1_jEEvDpT3_
	.globl	_Z6kernelI27subtract_right_partial_tileLj256ELj8ELb0EJPiS1_S1_jEEvDpT3_
	.p2align	8
	.type	_Z6kernelI27subtract_right_partial_tileLj256ELj8ELb0EJPiS1_S1_jEEvDpT3_,@function
_Z6kernelI27subtract_right_partial_tileLj256ELj8ELb0EJPiS1_S1_jEEvDpT3_: ; @_Z6kernelI27subtract_right_partial_tileLj256ELj8ELb0EJPiS1_S1_jEEvDpT3_
; %bb.0:
	s_load_b128 s[8:11], s[0:1], 0x0
	s_lshl_b32 s6, ttmp9, 11
	s_mov_b32 s7, 0
	v_lshlrev_b32_e32 v9, 2, v0
	s_lshl_b64 s[4:5], s[6:7], 2
	s_load_b96 s[0:2], s[0:1], 0x10
	v_lshlrev_b32_e32 v17, 3, v0
	s_delay_alu instid0(VALU_DEP_1)
	v_or_b32_e32 v11, 2, v17
	v_or_b32_e32 v12, 3, v17
	;; [unrolled: 1-line block ×6, first 2 shown]
	s_wait_kmcnt 0x0
	s_add_nc_u64 s[8:9], s[8:9], s[4:5]
	s_clause 0x7
	global_load_b32 v1, v9, s[8:9]
	global_load_b32 v2, v9, s[8:9] offset:1024
	global_load_b32 v3, v9, s[8:9] offset:2048
	;; [unrolled: 1-line block ×7, first 2 shown]
	s_cvt_f32_u32 s3, s2
	s_sub_co_i32 s6, 0, s2
	s_delay_alu instid0(SALU_CYCLE_2) | instskip(NEXT) | instid1(TRANS32_DEP_1)
	v_rcp_iflag_f32_e32 v10, s3
	v_readfirstlane_b32 s3, v10
	v_or_b32_e32 v10, 1, v17
	v_add_nc_u32_e32 v17, 8, v17
	s_mul_f32 s3, s3, 0x4f7ffffe
	s_wait_alu 0xfffe
	s_delay_alu instid0(SALU_CYCLE_2) | instskip(SKIP_1) | instid1(SALU_CYCLE_2)
	s_cvt_u32_f32 s3, s3
	s_wait_alu 0xfffe
	s_mul_i32 s6, s6, s3
	s_delay_alu instid0(SALU_CYCLE_1) | instskip(NEXT) | instid1(SALU_CYCLE_1)
	s_mul_hi_u32 s6, s3, s6
	s_add_co_i32 s3, s3, s6
	s_mov_b32 s6, ttmp9
	s_wait_alu 0xfffe
	s_lshr_b32 s8, s3, 21
	s_lshl_b64 s[6:7], s[6:7], 2
	s_mul_i32 s9, s8, s2
	s_add_nc_u64 s[6:7], s[10:11], s[6:7]
	s_load_b32 s3, s[6:7], 0x0
	s_sub_co_i32 s6, 0x800, s9
	s_add_co_i32 s7, s8, 1
	s_sub_co_i32 s9, s6, s2
	s_cmp_ge_u32 s6, s2
	s_cselect_b32 s7, s7, s8
	s_cselect_b32 s6, s9, s6
	s_add_co_i32 s8, s7, 1
	s_cmp_ge_u32 s6, s2
	s_cselect_b32 s6, s8, s7
	s_delay_alu instid0(SALU_CYCLE_1)
	s_add_co_i32 s6, s6, 1
	s_branch .LBB183_2
.LBB183_1:                              ;   in Loop: Header=BB183_2 Depth=1
	s_or_b32 exec_lo, exec_lo, s7
	v_cmp_gt_u32_e32 vcc_lo, s3, v10
	s_add_co_i32 s2, s2, -1
	s_wait_loadcnt 0x0
	s_barrier_signal -1
	s_barrier_wait -1
	s_wait_alu 0xfffd
	v_cndmask_b32_e32 v19, 0, v2, vcc_lo
	v_cmp_gt_u32_e32 vcc_lo, s3, v11
	global_inv scope:SCOPE_SE
	s_wait_alu 0xfffd
	v_cndmask_b32_e32 v20, 0, v3, vcc_lo
	v_cmp_gt_u32_e32 vcc_lo, s3, v12
	v_sub_nc_u32_e32 v19, v1, v19
	s_delay_alu instid0(VALU_DEP_3)
	v_sub_nc_u32_e32 v20, v2, v20
	s_wait_alu 0xfffd
	v_cndmask_b32_e32 v21, 0, v4, vcc_lo
	v_cmp_gt_u32_e32 vcc_lo, s3, v13
	v_add_nc_u32_e32 v1, v19, v1
	v_add_nc_u32_e32 v2, v20, v2
	s_wait_alu 0xfffd
	v_cndmask_b32_e32 v22, 0, v5, vcc_lo
	v_cmp_gt_u32_e32 vcc_lo, s3, v14
	v_sub_nc_u32_e32 v21, v3, v21
	s_delay_alu instid0(VALU_DEP_3)
	v_sub_nc_u32_e32 v22, v4, v22
	s_wait_alu 0xfffd
	v_cndmask_b32_e32 v23, 0, v6, vcc_lo
	v_cmp_gt_u32_e32 vcc_lo, s3, v15
	v_add_nc_u32_e32 v3, v21, v3
	v_add_nc_u32_e32 v4, v22, v4
	s_wait_alu 0xfffd
	v_cndmask_b32_e32 v24, 0, v7, vcc_lo
	v_cmp_gt_u32_e32 vcc_lo, s3, v16
	v_sub_nc_u32_e32 v23, v5, v23
	s_add_co_i32 s3, s6, s3
	s_delay_alu instid0(VALU_DEP_3)
	v_sub_nc_u32_e32 v24, v6, v24
	s_wait_alu 0xfffd
	v_cndmask_b32_e32 v25, 0, v8, vcc_lo
	v_add_nc_u32_e32 v5, v23, v5
	v_add_nc_u32_e32 v8, v18, v8
	s_wait_alu 0xfffe
	s_and_b32 s3, s3, 0x7ff
	v_add_nc_u32_e32 v6, v24, v6
	v_sub_nc_u32_e32 v25, v7, v25
	s_cmp_lg_u32 s2, 0
	s_delay_alu instid0(VALU_DEP_1)
	v_add_nc_u32_e32 v7, v25, v7
	s_cbranch_scc0 .LBB183_4
.LBB183_2:                              ; =>This Inner Loop Header: Depth=1
	s_wait_loadcnt 0x0
	v_mov_b32_e32 v18, v8
	s_mov_b32 s7, exec_lo
	ds_store_b32 v9, v1 offset:1024
	s_wait_dscnt 0x0
	s_barrier_signal -1
	s_barrier_wait -1
	global_inv scope:SCOPE_SE
	s_wait_kmcnt 0x0
	s_wait_alu 0xfffe
	v_cmpx_gt_u32_e64 s3, v17
	s_cbranch_execz .LBB183_1
; %bb.3:                                ;   in Loop: Header=BB183_2 Depth=1
	ds_load_b32 v18, v9 offset:1028
	s_wait_dscnt 0x0
	v_sub_nc_u32_e32 v18, v8, v18
	s_branch .LBB183_1
.LBB183_4:
	v_lshlrev_b32_e32 v0, 2, v0
	s_add_nc_u64 s[0:1], s[0:1], s[4:5]
	s_clause 0x7
	global_store_b32 v0, v1, s[0:1]
	global_store_b32 v0, v2, s[0:1] offset:1024
	global_store_b32 v0, v3, s[0:1] offset:2048
	global_store_b32 v0, v4, s[0:1] offset:3072
	global_store_b32 v0, v5, s[0:1] offset:4096
	global_store_b32 v0, v6, s[0:1] offset:5120
	global_store_b32 v0, v7, s[0:1] offset:6144
	global_store_b32 v0, v8, s[0:1] offset:7168
	s_endpgm
	.section	.rodata,"a",@progbits
	.p2align	6, 0x0
	.amdhsa_kernel _Z6kernelI27subtract_right_partial_tileLj256ELj8ELb0EJPiS1_S1_jEEvDpT3_
		.amdhsa_group_segment_fixed_size 2048
		.amdhsa_private_segment_fixed_size 0
		.amdhsa_kernarg_size 28
		.amdhsa_user_sgpr_count 2
		.amdhsa_user_sgpr_dispatch_ptr 0
		.amdhsa_user_sgpr_queue_ptr 0
		.amdhsa_user_sgpr_kernarg_segment_ptr 1
		.amdhsa_user_sgpr_dispatch_id 0
		.amdhsa_user_sgpr_private_segment_size 0
		.amdhsa_wavefront_size32 1
		.amdhsa_uses_dynamic_stack 0
		.amdhsa_enable_private_segment 0
		.amdhsa_system_sgpr_workgroup_id_x 1
		.amdhsa_system_sgpr_workgroup_id_y 0
		.amdhsa_system_sgpr_workgroup_id_z 0
		.amdhsa_system_sgpr_workgroup_info 0
		.amdhsa_system_vgpr_workitem_id 0
		.amdhsa_next_free_vgpr 26
		.amdhsa_next_free_sgpr 12
		.amdhsa_reserve_vcc 1
		.amdhsa_float_round_mode_32 0
		.amdhsa_float_round_mode_16_64 0
		.amdhsa_float_denorm_mode_32 3
		.amdhsa_float_denorm_mode_16_64 3
		.amdhsa_fp16_overflow 0
		.amdhsa_workgroup_processor_mode 1
		.amdhsa_memory_ordered 1
		.amdhsa_forward_progress 1
		.amdhsa_inst_pref_size 6
		.amdhsa_round_robin_scheduling 0
		.amdhsa_exception_fp_ieee_invalid_op 0
		.amdhsa_exception_fp_denorm_src 0
		.amdhsa_exception_fp_ieee_div_zero 0
		.amdhsa_exception_fp_ieee_overflow 0
		.amdhsa_exception_fp_ieee_underflow 0
		.amdhsa_exception_fp_ieee_inexact 0
		.amdhsa_exception_int_div_zero 0
	.end_amdhsa_kernel
	.section	.text._Z6kernelI27subtract_right_partial_tileLj256ELj8ELb0EJPiS1_S1_jEEvDpT3_,"axG",@progbits,_Z6kernelI27subtract_right_partial_tileLj256ELj8ELb0EJPiS1_S1_jEEvDpT3_,comdat
.Lfunc_end183:
	.size	_Z6kernelI27subtract_right_partial_tileLj256ELj8ELb0EJPiS1_S1_jEEvDpT3_, .Lfunc_end183-_Z6kernelI27subtract_right_partial_tileLj256ELj8ELb0EJPiS1_S1_jEEvDpT3_
                                        ; -- End function
	.set _Z6kernelI27subtract_right_partial_tileLj256ELj8ELb0EJPiS1_S1_jEEvDpT3_.num_vgpr, 26
	.set _Z6kernelI27subtract_right_partial_tileLj256ELj8ELb0EJPiS1_S1_jEEvDpT3_.num_agpr, 0
	.set _Z6kernelI27subtract_right_partial_tileLj256ELj8ELb0EJPiS1_S1_jEEvDpT3_.numbered_sgpr, 12
	.set _Z6kernelI27subtract_right_partial_tileLj256ELj8ELb0EJPiS1_S1_jEEvDpT3_.num_named_barrier, 0
	.set _Z6kernelI27subtract_right_partial_tileLj256ELj8ELb0EJPiS1_S1_jEEvDpT3_.private_seg_size, 0
	.set _Z6kernelI27subtract_right_partial_tileLj256ELj8ELb0EJPiS1_S1_jEEvDpT3_.uses_vcc, 1
	.set _Z6kernelI27subtract_right_partial_tileLj256ELj8ELb0EJPiS1_S1_jEEvDpT3_.uses_flat_scratch, 0
	.set _Z6kernelI27subtract_right_partial_tileLj256ELj8ELb0EJPiS1_S1_jEEvDpT3_.has_dyn_sized_stack, 0
	.set _Z6kernelI27subtract_right_partial_tileLj256ELj8ELb0EJPiS1_S1_jEEvDpT3_.has_recursion, 0
	.set _Z6kernelI27subtract_right_partial_tileLj256ELj8ELb0EJPiS1_S1_jEEvDpT3_.has_indirect_call, 0
	.section	.AMDGPU.csdata,"",@progbits
; Kernel info:
; codeLenInByte = 736
; TotalNumSgprs: 14
; NumVgprs: 26
; ScratchSize: 0
; MemoryBound: 0
; FloatMode: 240
; IeeeMode: 1
; LDSByteSize: 2048 bytes/workgroup (compile time only)
; SGPRBlocks: 0
; VGPRBlocks: 3
; NumSGPRsForWavesPerEU: 14
; NumVGPRsForWavesPerEU: 26
; Occupancy: 16
; WaveLimiterHint : 1
; COMPUTE_PGM_RSRC2:SCRATCH_EN: 0
; COMPUTE_PGM_RSRC2:USER_SGPR: 2
; COMPUTE_PGM_RSRC2:TRAP_HANDLER: 0
; COMPUTE_PGM_RSRC2:TGID_X_EN: 1
; COMPUTE_PGM_RSRC2:TGID_Y_EN: 0
; COMPUTE_PGM_RSRC2:TGID_Z_EN: 0
; COMPUTE_PGM_RSRC2:TIDIG_COMP_CNT: 0
	.section	.text._Z6kernelI27subtract_right_partial_tileLj256ELj16ELb0EJPiS1_S1_jEEvDpT3_,"axG",@progbits,_Z6kernelI27subtract_right_partial_tileLj256ELj16ELb0EJPiS1_S1_jEEvDpT3_,comdat
	.protected	_Z6kernelI27subtract_right_partial_tileLj256ELj16ELb0EJPiS1_S1_jEEvDpT3_ ; -- Begin function _Z6kernelI27subtract_right_partial_tileLj256ELj16ELb0EJPiS1_S1_jEEvDpT3_
	.globl	_Z6kernelI27subtract_right_partial_tileLj256ELj16ELb0EJPiS1_S1_jEEvDpT3_
	.p2align	8
	.type	_Z6kernelI27subtract_right_partial_tileLj256ELj16ELb0EJPiS1_S1_jEEvDpT3_,@function
_Z6kernelI27subtract_right_partial_tileLj256ELj16ELb0EJPiS1_S1_jEEvDpT3_: ; @_Z6kernelI27subtract_right_partial_tileLj256ELj16ELb0EJPiS1_S1_jEEvDpT3_
; %bb.0:
	s_load_b128 s[4:7], s[0:1], 0x0
	s_lshl_b32 s10, ttmp9, 12
	s_mov_b32 s11, 0
	v_lshlrev_b32_e32 v17, 2, v0
	s_lshl_b64 s[8:9], s[10:11], 2
	s_load_b96 s[0:2], s[0:1], 0x10
	s_mov_b32 s10, ttmp9
	v_lshlrev_b32_e32 v33, 4, v0
	s_delay_alu instid0(VALU_DEP_1)
	v_or_b32_e32 v19, 2, v33
	v_or_b32_e32 v20, 3, v33
	;; [unrolled: 1-line block ×8, first 2 shown]
	s_wait_kmcnt 0x0
	s_add_nc_u64 s[4:5], s[4:5], s[8:9]
	v_or_b32_e32 v27, 10, v33
	s_clause 0xf
	global_load_b32 v16, v17, s[4:5]
	global_load_b32 v15, v17, s[4:5] offset:1024
	global_load_b32 v14, v17, s[4:5] offset:2048
	;; [unrolled: 1-line block ×15, first 2 shown]
	v_or_b32_e32 v28, 11, v33
	v_or_b32_e32 v29, 12, v33
	s_cvt_f32_u32 s3, s2
	s_sub_co_i32 s4, 0, s2
	v_or_b32_e32 v30, 13, v33
	v_or_b32_e32 v31, 14, v33
	v_rcp_iflag_f32_e32 v18, s3
	v_or_b32_e32 v32, 15, v33
	s_delay_alu instid0(TRANS32_DEP_1) | instskip(SKIP_4) | instid1(SALU_CYCLE_2)
	v_readfirstlane_b32 s3, v18
	v_or_b32_e32 v18, 1, v33
	v_add_nc_u32_e32 v33, 16, v33
	s_mul_f32 s3, s3, 0x4f7ffffe
	s_wait_alu 0xfffe
	s_cvt_u32_f32 s3, s3
	s_wait_alu 0xfffe
	s_delay_alu instid0(SALU_CYCLE_2) | instskip(NEXT) | instid1(SALU_CYCLE_1)
	s_mul_i32 s4, s4, s3
	s_mul_hi_u32 s4, s3, s4
	s_delay_alu instid0(SALU_CYCLE_1)
	s_add_co_i32 s3, s3, s4
	s_lshl_b64 s[4:5], s[10:11], 2
	s_wait_alu 0xfffe
	s_lshr_b32 s10, s3, 20
	s_add_nc_u64 s[4:5], s[6:7], s[4:5]
	s_mul_i32 s6, s10, s2
	s_load_b32 s3, s[4:5], 0x0
	s_sub_co_i32 s4, 0x1000, s6
	s_add_co_i32 s5, s10, 1
	s_sub_co_i32 s6, s4, s2
	s_cmp_ge_u32 s4, s2
	s_cselect_b32 s5, s5, s10
	s_cselect_b32 s4, s6, s4
	s_add_co_i32 s6, s5, 1
	s_cmp_ge_u32 s4, s2
	s_cselect_b32 s4, s6, s5
	s_delay_alu instid0(SALU_CYCLE_1)
	s_add_co_i32 s4, s4, 1
	s_branch .LBB184_2
.LBB184_1:                              ;   in Loop: Header=BB184_2 Depth=1
	s_or_b32 exec_lo, exec_lo, s5
	v_cmp_gt_u32_e32 vcc_lo, s3, v18
	s_add_co_i32 s2, s2, -1
	s_wait_loadcnt 0x0
	s_barrier_signal -1
	s_barrier_wait -1
	s_wait_alu 0xfffd
	v_cndmask_b32_e32 v35, 0, v15, vcc_lo
	v_cmp_gt_u32_e32 vcc_lo, s3, v19
	global_inv scope:SCOPE_SE
	s_wait_alu 0xfffd
	v_cndmask_b32_e32 v36, 0, v14, vcc_lo
	v_cmp_gt_u32_e32 vcc_lo, s3, v20
	v_sub_nc_u32_e32 v35, v16, v35
	s_delay_alu instid0(VALU_DEP_3)
	v_sub_nc_u32_e32 v36, v15, v36
	s_wait_alu 0xfffd
	v_cndmask_b32_e32 v37, 0, v13, vcc_lo
	v_cmp_gt_u32_e32 vcc_lo, s3, v21
	v_add_nc_u32_e32 v16, v35, v16
	s_wait_alu 0xfffd
	v_dual_cndmask_b32 v38, 0, v12 :: v_dual_add_nc_u32 v15, v36, v15
	v_cmp_gt_u32_e32 vcc_lo, s3, v22
	v_sub_nc_u32_e32 v37, v14, v37
	s_delay_alu instid0(VALU_DEP_3)
	v_sub_nc_u32_e32 v38, v13, v38
	s_wait_alu 0xfffd
	v_cndmask_b32_e32 v39, 0, v11, vcc_lo
	v_cmp_gt_u32_e32 vcc_lo, s3, v23
	v_add_nc_u32_e32 v14, v37, v14
	s_wait_alu 0xfffd
	v_dual_cndmask_b32 v40, 0, v10 :: v_dual_add_nc_u32 v13, v38, v13
	;; [unrolled: 10-line block ×6, first 2 shown]
	v_cmp_gt_u32_e32 vcc_lo, s3, v32
	v_sub_nc_u32_e32 v47, v4, v47
	s_add_co_i32 s3, s4, s3
	s_delay_alu instid0(VALU_DEP_3) | instskip(SKIP_1) | instid1(VALU_DEP_2)
	v_sub_nc_u32_e32 v48, v3, v48
	s_wait_alu 0xfffd
	v_dual_cndmask_b32 v49, 0, v1 :: v_dual_add_nc_u32 v4, v47, v4
	v_add_nc_u32_e32 v1, v34, v1
	s_wait_alu 0xfffe
	s_and_b32 s3, s3, 0xfff
	v_add_nc_u32_e32 v3, v48, v3
	v_sub_nc_u32_e32 v49, v2, v49
	s_cmp_lg_u32 s2, 0
	s_delay_alu instid0(VALU_DEP_1)
	v_add_nc_u32_e32 v2, v49, v2
	s_cbranch_scc0 .LBB184_4
.LBB184_2:                              ; =>This Inner Loop Header: Depth=1
	s_wait_loadcnt 0x0
	v_mov_b32_e32 v34, v1
	s_mov_b32 s5, exec_lo
	ds_store_b32 v17, v16 offset:1024
	s_wait_dscnt 0x0
	s_barrier_signal -1
	s_barrier_wait -1
	global_inv scope:SCOPE_SE
	s_wait_kmcnt 0x0
	s_wait_alu 0xfffe
	v_cmpx_gt_u32_e64 s3, v33
	s_cbranch_execz .LBB184_1
; %bb.3:                                ;   in Loop: Header=BB184_2 Depth=1
	ds_load_b32 v34, v17 offset:1028
	s_wait_dscnt 0x0
	v_sub_nc_u32_e32 v34, v1, v34
	s_branch .LBB184_1
.LBB184_4:
	v_lshlrev_b32_e32 v0, 2, v0
	s_add_nc_u64 s[0:1], s[0:1], s[8:9]
	s_clause 0xf
	global_store_b32 v0, v16, s[0:1]
	global_store_b32 v0, v15, s[0:1] offset:1024
	global_store_b32 v0, v14, s[0:1] offset:2048
	;; [unrolled: 1-line block ×15, first 2 shown]
	s_endpgm
	.section	.rodata,"a",@progbits
	.p2align	6, 0x0
	.amdhsa_kernel _Z6kernelI27subtract_right_partial_tileLj256ELj16ELb0EJPiS1_S1_jEEvDpT3_
		.amdhsa_group_segment_fixed_size 2048
		.amdhsa_private_segment_fixed_size 0
		.amdhsa_kernarg_size 28
		.amdhsa_user_sgpr_count 2
		.amdhsa_user_sgpr_dispatch_ptr 0
		.amdhsa_user_sgpr_queue_ptr 0
		.amdhsa_user_sgpr_kernarg_segment_ptr 1
		.amdhsa_user_sgpr_dispatch_id 0
		.amdhsa_user_sgpr_private_segment_size 0
		.amdhsa_wavefront_size32 1
		.amdhsa_uses_dynamic_stack 0
		.amdhsa_enable_private_segment 0
		.amdhsa_system_sgpr_workgroup_id_x 1
		.amdhsa_system_sgpr_workgroup_id_y 0
		.amdhsa_system_sgpr_workgroup_id_z 0
		.amdhsa_system_sgpr_workgroup_info 0
		.amdhsa_system_vgpr_workitem_id 0
		.amdhsa_next_free_vgpr 50
		.amdhsa_next_free_sgpr 12
		.amdhsa_reserve_vcc 1
		.amdhsa_float_round_mode_32 0
		.amdhsa_float_round_mode_16_64 0
		.amdhsa_float_denorm_mode_32 3
		.amdhsa_float_denorm_mode_16_64 3
		.amdhsa_fp16_overflow 0
		.amdhsa_workgroup_processor_mode 1
		.amdhsa_memory_ordered 1
		.amdhsa_forward_progress 1
		.amdhsa_inst_pref_size 9
		.amdhsa_round_robin_scheduling 0
		.amdhsa_exception_fp_ieee_invalid_op 0
		.amdhsa_exception_fp_denorm_src 0
		.amdhsa_exception_fp_ieee_div_zero 0
		.amdhsa_exception_fp_ieee_overflow 0
		.amdhsa_exception_fp_ieee_underflow 0
		.amdhsa_exception_fp_ieee_inexact 0
		.amdhsa_exception_int_div_zero 0
	.end_amdhsa_kernel
	.section	.text._Z6kernelI27subtract_right_partial_tileLj256ELj16ELb0EJPiS1_S1_jEEvDpT3_,"axG",@progbits,_Z6kernelI27subtract_right_partial_tileLj256ELj16ELb0EJPiS1_S1_jEEvDpT3_,comdat
.Lfunc_end184:
	.size	_Z6kernelI27subtract_right_partial_tileLj256ELj16ELb0EJPiS1_S1_jEEvDpT3_, .Lfunc_end184-_Z6kernelI27subtract_right_partial_tileLj256ELj16ELb0EJPiS1_S1_jEEvDpT3_
                                        ; -- End function
	.set _Z6kernelI27subtract_right_partial_tileLj256ELj16ELb0EJPiS1_S1_jEEvDpT3_.num_vgpr, 50
	.set _Z6kernelI27subtract_right_partial_tileLj256ELj16ELb0EJPiS1_S1_jEEvDpT3_.num_agpr, 0
	.set _Z6kernelI27subtract_right_partial_tileLj256ELj16ELb0EJPiS1_S1_jEEvDpT3_.numbered_sgpr, 12
	.set _Z6kernelI27subtract_right_partial_tileLj256ELj16ELb0EJPiS1_S1_jEEvDpT3_.num_named_barrier, 0
	.set _Z6kernelI27subtract_right_partial_tileLj256ELj16ELb0EJPiS1_S1_jEEvDpT3_.private_seg_size, 0
	.set _Z6kernelI27subtract_right_partial_tileLj256ELj16ELb0EJPiS1_S1_jEEvDpT3_.uses_vcc, 1
	.set _Z6kernelI27subtract_right_partial_tileLj256ELj16ELb0EJPiS1_S1_jEEvDpT3_.uses_flat_scratch, 0
	.set _Z6kernelI27subtract_right_partial_tileLj256ELj16ELb0EJPiS1_S1_jEEvDpT3_.has_dyn_sized_stack, 0
	.set _Z6kernelI27subtract_right_partial_tileLj256ELj16ELb0EJPiS1_S1_jEEvDpT3_.has_recursion, 0
	.set _Z6kernelI27subtract_right_partial_tileLj256ELj16ELb0EJPiS1_S1_jEEvDpT3_.has_indirect_call, 0
	.section	.AMDGPU.csdata,"",@progbits
; Kernel info:
; codeLenInByte = 1136
; TotalNumSgprs: 14
; NumVgprs: 50
; ScratchSize: 0
; MemoryBound: 0
; FloatMode: 240
; IeeeMode: 1
; LDSByteSize: 2048 bytes/workgroup (compile time only)
; SGPRBlocks: 0
; VGPRBlocks: 6
; NumSGPRsForWavesPerEU: 14
; NumVGPRsForWavesPerEU: 50
; Occupancy: 16
; WaveLimiterHint : 1
; COMPUTE_PGM_RSRC2:SCRATCH_EN: 0
; COMPUTE_PGM_RSRC2:USER_SGPR: 2
; COMPUTE_PGM_RSRC2:TRAP_HANDLER: 0
; COMPUTE_PGM_RSRC2:TGID_X_EN: 1
; COMPUTE_PGM_RSRC2:TGID_Y_EN: 0
; COMPUTE_PGM_RSRC2:TGID_Z_EN: 0
; COMPUTE_PGM_RSRC2:TIDIG_COMP_CNT: 0
	.section	.text._Z6kernelI27subtract_right_partial_tileLj256ELj32ELb0EJPiS1_S1_jEEvDpT3_,"axG",@progbits,_Z6kernelI27subtract_right_partial_tileLj256ELj32ELb0EJPiS1_S1_jEEvDpT3_,comdat
	.protected	_Z6kernelI27subtract_right_partial_tileLj256ELj32ELb0EJPiS1_S1_jEEvDpT3_ ; -- Begin function _Z6kernelI27subtract_right_partial_tileLj256ELj32ELb0EJPiS1_S1_jEEvDpT3_
	.globl	_Z6kernelI27subtract_right_partial_tileLj256ELj32ELb0EJPiS1_S1_jEEvDpT3_
	.p2align	8
	.type	_Z6kernelI27subtract_right_partial_tileLj256ELj32ELb0EJPiS1_S1_jEEvDpT3_,@function
_Z6kernelI27subtract_right_partial_tileLj256ELj32ELb0EJPiS1_S1_jEEvDpT3_: ; @_Z6kernelI27subtract_right_partial_tileLj256ELj32ELb0EJPiS1_S1_jEEvDpT3_
; %bb.0:
	s_load_b128 s[4:7], s[0:1], 0x0
	s_lshl_b32 s10, ttmp9, 13
	s_mov_b32 s11, 0
	v_lshlrev_b32_e32 v33, 2, v0
	s_lshl_b64 s[8:9], s[10:11], 2
	s_load_b96 s[0:2], s[0:1], 0x10
	s_mov_b32 s10, ttmp9
	v_lshlrev_b32_e32 v65, 5, v0
	s_delay_alu instid0(VALU_DEP_1)
	v_or_b32_e32 v35, 2, v65
	v_or_b32_e32 v36, 3, v65
	;; [unrolled: 1-line block ×8, first 2 shown]
	s_wait_kmcnt 0x0
	s_add_nc_u64 s[4:5], s[4:5], s[8:9]
	v_or_b32_e32 v43, 10, v65
	s_clause 0x1f
	global_load_b32 v32, v33, s[4:5]
	global_load_b32 v31, v33, s[4:5] offset:1024
	global_load_b32 v30, v33, s[4:5] offset:2048
	;; [unrolled: 1-line block ×31, first 2 shown]
	v_or_b32_e32 v44, 11, v65
	v_or_b32_e32 v45, 12, v65
	s_cvt_f32_u32 s3, s2
	s_sub_co_i32 s4, 0, s2
	v_or_b32_e32 v46, 13, v65
	v_or_b32_e32 v47, 14, v65
	v_rcp_iflag_f32_e32 v34, s3
	v_or_b32_e32 v48, 15, v65
	v_or_b32_e32 v49, 16, v65
	;; [unrolled: 1-line block ×9, first 2 shown]
	v_readfirstlane_b32 s3, v34
	v_or_b32_e32 v34, 1, v65
	v_or_b32_e32 v57, 24, v65
	;; [unrolled: 1-line block ×4, first 2 shown]
	s_mul_f32 s3, s3, 0x4f7ffffe
	v_or_b32_e32 v60, 27, v65
	v_or_b32_e32 v61, 28, v65
	;; [unrolled: 1-line block ×3, first 2 shown]
	s_wait_alu 0xfffe
	s_cvt_u32_f32 s3, s3
	v_or_b32_e32 v63, 30, v65
	v_or_b32_e32 v64, 31, v65
	v_add_nc_u32_e32 v65, 32, v65
	s_wait_alu 0xfffe
	s_mul_i32 s4, s4, s3
	s_delay_alu instid0(SALU_CYCLE_1) | instskip(NEXT) | instid1(SALU_CYCLE_1)
	s_mul_hi_u32 s4, s3, s4
	s_add_co_i32 s3, s3, s4
	s_lshl_b64 s[4:5], s[10:11], 2
	s_wait_alu 0xfffe
	s_lshr_b32 s10, s3, 19
	s_add_nc_u64 s[4:5], s[6:7], s[4:5]
	s_mul_i32 s6, s10, s2
	s_load_b32 s3, s[4:5], 0x0
	s_sub_co_i32 s4, 0x2000, s6
	s_add_co_i32 s5, s10, 1
	s_sub_co_i32 s6, s4, s2
	s_cmp_ge_u32 s4, s2
	s_cselect_b32 s5, s5, s10
	s_cselect_b32 s4, s6, s4
	s_add_co_i32 s6, s5, 1
	s_cmp_ge_u32 s4, s2
	s_cselect_b32 s4, s6, s5
	s_delay_alu instid0(SALU_CYCLE_1)
	s_add_co_i32 s4, s4, 1
	s_branch .LBB185_2
.LBB185_1:                              ;   in Loop: Header=BB185_2 Depth=1
	s_or_b32 exec_lo, exec_lo, s5
	v_cmp_gt_u32_e32 vcc_lo, s3, v34
	s_add_co_i32 s2, s2, -1
	s_wait_loadcnt 0x0
	s_barrier_signal -1
	s_barrier_wait -1
	s_wait_alu 0xfffd
	v_cndmask_b32_e32 v67, 0, v31, vcc_lo
	v_cmp_gt_u32_e32 vcc_lo, s3, v35
	global_inv scope:SCOPE_SE
	s_wait_alu 0xfffd
	v_cndmask_b32_e32 v68, 0, v30, vcc_lo
	v_cmp_gt_u32_e32 vcc_lo, s3, v36
	v_sub_nc_u32_e32 v67, v32, v67
	s_delay_alu instid0(VALU_DEP_3)
	v_sub_nc_u32_e32 v68, v31, v68
	s_wait_alu 0xfffd
	v_cndmask_b32_e32 v69, 0, v29, vcc_lo
	v_cmp_gt_u32_e32 vcc_lo, s3, v37
	s_wait_alu 0xfffd
	v_cndmask_b32_e32 v70, 0, v28, vcc_lo
	v_cmp_gt_u32_e32 vcc_lo, s3, v38
	v_sub_nc_u32_e32 v69, v30, v69
	s_delay_alu instid0(VALU_DEP_3)
	v_sub_nc_u32_e32 v70, v29, v70
	s_wait_alu 0xfffd
	v_cndmask_b32_e32 v71, 0, v27, vcc_lo
	v_cmp_gt_u32_e32 vcc_lo, s3, v39
	s_wait_alu 0xfffd
	v_dual_cndmask_b32 v72, 0, v26 :: v_dual_add_nc_u32 v29, v70, v29
	v_cmp_gt_u32_e32 vcc_lo, s3, v40
	v_sub_nc_u32_e32 v71, v28, v71
	s_delay_alu instid0(VALU_DEP_3)
	v_sub_nc_u32_e32 v72, v27, v72
	s_wait_alu 0xfffd
	v_cndmask_b32_e32 v73, 0, v25, vcc_lo
	v_cmp_gt_u32_e32 vcc_lo, s3, v41
	v_add_nc_u32_e32 v28, v71, v28
	s_wait_alu 0xfffd
	v_dual_cndmask_b32 v74, 0, v24 :: v_dual_add_nc_u32 v27, v72, v27
	v_cmp_gt_u32_e32 vcc_lo, s3, v42
	v_sub_nc_u32_e32 v73, v26, v73
	s_delay_alu instid0(VALU_DEP_3)
	v_sub_nc_u32_e32 v74, v25, v74
	s_wait_alu 0xfffd
	v_cndmask_b32_e32 v75, 0, v23, vcc_lo
	v_cmp_gt_u32_e32 vcc_lo, s3, v43
	v_add_nc_u32_e32 v26, v73, v26
	;; [unrolled: 10-line block ×11, first 2 shown]
	s_wait_alu 0xfffd
	v_dual_cndmask_b32 v94, 0, v4 :: v_dual_add_nc_u32 v7, v92, v7
	v_cmp_gt_u32_e32 vcc_lo, s3, v62
	v_add_nc_u32_e32 v32, v67, v32
	v_sub_nc_u32_e32 v93, v6, v93
	s_delay_alu instid0(VALU_DEP_4)
	v_sub_nc_u32_e32 v94, v5, v94
	s_wait_alu 0xfffd
	v_cndmask_b32_e32 v67, 0, v3, vcc_lo
	v_cmp_gt_u32_e32 vcc_lo, s3, v63
	v_add_nc_u32_e32 v31, v68, v31
	v_add_nc_u32_e32 v6, v93, v6
	;; [unrolled: 1-line block ×3, first 2 shown]
	v_sub_nc_u32_e32 v67, v4, v67
	s_wait_alu 0xfffd
	v_cndmask_b32_e32 v68, 0, v2, vcc_lo
	v_cmp_gt_u32_e32 vcc_lo, s3, v64
	v_add_nc_u32_e32 v30, v69, v30
	s_add_co_i32 s3, s4, s3
	v_add_nc_u32_e32 v4, v67, v4
	v_sub_nc_u32_e32 v68, v3, v68
	s_wait_alu 0xfffd
	v_cndmask_b32_e32 v69, 0, v1, vcc_lo
	v_add_nc_u32_e32 v1, v66, v1
	s_wait_alu 0xfffe
	s_and_b32 s3, s3, 0x1fff
	s_cmp_lg_u32 s2, 0
	v_add_nc_u32_e32 v3, v68, v3
	v_sub_nc_u32_e32 v69, v2, v69
	s_delay_alu instid0(VALU_DEP_1)
	v_add_nc_u32_e32 v2, v69, v2
	s_cbranch_scc0 .LBB185_4
.LBB185_2:                              ; =>This Inner Loop Header: Depth=1
	s_wait_loadcnt 0x0
	v_mov_b32_e32 v66, v1
	s_mov_b32 s5, exec_lo
	ds_store_b32 v33, v32 offset:1024
	s_wait_dscnt 0x0
	s_barrier_signal -1
	s_barrier_wait -1
	global_inv scope:SCOPE_SE
	s_wait_kmcnt 0x0
	s_wait_alu 0xfffe
	v_cmpx_gt_u32_e64 s3, v65
	s_cbranch_execz .LBB185_1
; %bb.3:                                ;   in Loop: Header=BB185_2 Depth=1
	ds_load_b32 v66, v33 offset:1028
	s_wait_dscnt 0x0
	v_sub_nc_u32_e32 v66, v1, v66
	s_branch .LBB185_1
.LBB185_4:
	v_lshlrev_b32_e32 v0, 2, v0
	s_add_nc_u64 s[0:1], s[0:1], s[8:9]
	s_clause 0x1f
	global_store_b32 v0, v32, s[0:1]
	global_store_b32 v0, v31, s[0:1] offset:1024
	global_store_b32 v0, v30, s[0:1] offset:2048
	;; [unrolled: 1-line block ×31, first 2 shown]
	s_endpgm
	.section	.rodata,"a",@progbits
	.p2align	6, 0x0
	.amdhsa_kernel _Z6kernelI27subtract_right_partial_tileLj256ELj32ELb0EJPiS1_S1_jEEvDpT3_
		.amdhsa_group_segment_fixed_size 2048
		.amdhsa_private_segment_fixed_size 0
		.amdhsa_kernarg_size 28
		.amdhsa_user_sgpr_count 2
		.amdhsa_user_sgpr_dispatch_ptr 0
		.amdhsa_user_sgpr_queue_ptr 0
		.amdhsa_user_sgpr_kernarg_segment_ptr 1
		.amdhsa_user_sgpr_dispatch_id 0
		.amdhsa_user_sgpr_private_segment_size 0
		.amdhsa_wavefront_size32 1
		.amdhsa_uses_dynamic_stack 0
		.amdhsa_enable_private_segment 0
		.amdhsa_system_sgpr_workgroup_id_x 1
		.amdhsa_system_sgpr_workgroup_id_y 0
		.amdhsa_system_sgpr_workgroup_id_z 0
		.amdhsa_system_sgpr_workgroup_info 0
		.amdhsa_system_vgpr_workitem_id 0
		.amdhsa_next_free_vgpr 95
		.amdhsa_next_free_sgpr 12
		.amdhsa_reserve_vcc 1
		.amdhsa_float_round_mode_32 0
		.amdhsa_float_round_mode_16_64 0
		.amdhsa_float_denorm_mode_32 3
		.amdhsa_float_denorm_mode_16_64 3
		.amdhsa_fp16_overflow 0
		.amdhsa_workgroup_processor_mode 1
		.amdhsa_memory_ordered 1
		.amdhsa_forward_progress 1
		.amdhsa_inst_pref_size 16
		.amdhsa_round_robin_scheduling 0
		.amdhsa_exception_fp_ieee_invalid_op 0
		.amdhsa_exception_fp_denorm_src 0
		.amdhsa_exception_fp_ieee_div_zero 0
		.amdhsa_exception_fp_ieee_overflow 0
		.amdhsa_exception_fp_ieee_underflow 0
		.amdhsa_exception_fp_ieee_inexact 0
		.amdhsa_exception_int_div_zero 0
	.end_amdhsa_kernel
	.section	.text._Z6kernelI27subtract_right_partial_tileLj256ELj32ELb0EJPiS1_S1_jEEvDpT3_,"axG",@progbits,_Z6kernelI27subtract_right_partial_tileLj256ELj32ELb0EJPiS1_S1_jEEvDpT3_,comdat
.Lfunc_end185:
	.size	_Z6kernelI27subtract_right_partial_tileLj256ELj32ELb0EJPiS1_S1_jEEvDpT3_, .Lfunc_end185-_Z6kernelI27subtract_right_partial_tileLj256ELj32ELb0EJPiS1_S1_jEEvDpT3_
                                        ; -- End function
	.set _Z6kernelI27subtract_right_partial_tileLj256ELj32ELb0EJPiS1_S1_jEEvDpT3_.num_vgpr, 95
	.set _Z6kernelI27subtract_right_partial_tileLj256ELj32ELb0EJPiS1_S1_jEEvDpT3_.num_agpr, 0
	.set _Z6kernelI27subtract_right_partial_tileLj256ELj32ELb0EJPiS1_S1_jEEvDpT3_.numbered_sgpr, 12
	.set _Z6kernelI27subtract_right_partial_tileLj256ELj32ELb0EJPiS1_S1_jEEvDpT3_.num_named_barrier, 0
	.set _Z6kernelI27subtract_right_partial_tileLj256ELj32ELb0EJPiS1_S1_jEEvDpT3_.private_seg_size, 0
	.set _Z6kernelI27subtract_right_partial_tileLj256ELj32ELb0EJPiS1_S1_jEEvDpT3_.uses_vcc, 1
	.set _Z6kernelI27subtract_right_partial_tileLj256ELj32ELb0EJPiS1_S1_jEEvDpT3_.uses_flat_scratch, 0
	.set _Z6kernelI27subtract_right_partial_tileLj256ELj32ELb0EJPiS1_S1_jEEvDpT3_.has_dyn_sized_stack, 0
	.set _Z6kernelI27subtract_right_partial_tileLj256ELj32ELb0EJPiS1_S1_jEEvDpT3_.has_recursion, 0
	.set _Z6kernelI27subtract_right_partial_tileLj256ELj32ELb0EJPiS1_S1_jEEvDpT3_.has_indirect_call, 0
	.section	.AMDGPU.csdata,"",@progbits
; Kernel info:
; codeLenInByte = 1924
; TotalNumSgprs: 14
; NumVgprs: 95
; ScratchSize: 0
; MemoryBound: 0
; FloatMode: 240
; IeeeMode: 1
; LDSByteSize: 2048 bytes/workgroup (compile time only)
; SGPRBlocks: 0
; VGPRBlocks: 11
; NumSGPRsForWavesPerEU: 14
; NumVGPRsForWavesPerEU: 95
; Occupancy: 16
; WaveLimiterHint : 1
; COMPUTE_PGM_RSRC2:SCRATCH_EN: 0
; COMPUTE_PGM_RSRC2:USER_SGPR: 2
; COMPUTE_PGM_RSRC2:TRAP_HANDLER: 0
; COMPUTE_PGM_RSRC2:TGID_X_EN: 1
; COMPUTE_PGM_RSRC2:TGID_Y_EN: 0
; COMPUTE_PGM_RSRC2:TGID_Z_EN: 0
; COMPUTE_PGM_RSRC2:TIDIG_COMP_CNT: 0
	.section	.text._Z6kernelI27subtract_right_partial_tileLj256ELj1ELb0EJPfPiS1_jEEvDpT3_,"axG",@progbits,_Z6kernelI27subtract_right_partial_tileLj256ELj1ELb0EJPfPiS1_jEEvDpT3_,comdat
	.protected	_Z6kernelI27subtract_right_partial_tileLj256ELj1ELb0EJPfPiS1_jEEvDpT3_ ; -- Begin function _Z6kernelI27subtract_right_partial_tileLj256ELj1ELb0EJPfPiS1_jEEvDpT3_
	.globl	_Z6kernelI27subtract_right_partial_tileLj256ELj1ELb0EJPfPiS1_jEEvDpT3_
	.p2align	8
	.type	_Z6kernelI27subtract_right_partial_tileLj256ELj1ELb0EJPfPiS1_jEEvDpT3_,@function
_Z6kernelI27subtract_right_partial_tileLj256ELj1ELb0EJPfPiS1_jEEvDpT3_: ; @_Z6kernelI27subtract_right_partial_tileLj256ELj1ELb0EJPfPiS1_jEEvDpT3_
; %bb.0:
	s_load_b128 s[8:11], s[0:1], 0x0
	s_lshl_b32 s6, ttmp9, 8
	s_mov_b32 s7, 0
	v_lshlrev_b32_e32 v2, 2, v0
	s_lshl_b64 s[4:5], s[6:7], 2
	s_load_b96 s[0:2], s[0:1], 0x10
	s_mov_b32 s6, ttmp9
	s_delay_alu instid0(SALU_CYCLE_1)
	s_lshl_b64 s[6:7], s[6:7], 2
	s_wait_kmcnt 0x0
	s_add_nc_u64 s[8:9], s[8:9], s[4:5]
	s_add_nc_u64 s[6:7], s[10:11], s[6:7]
	global_load_b32 v1, v2, s[8:9]
	s_cvt_f32_u32 s3, s2
	s_delay_alu instid0(SALU_CYCLE_3) | instskip(NEXT) | instid1(TRANS32_DEP_1)
	v_rcp_iflag_f32_e32 v3, s3
	v_readfirstlane_b32 s3, v3
	v_add_nc_u32_e32 v3, 1, v0
	s_mul_f32 s3, s3, 0x4f7ffffe
	s_wait_alu 0xfffe
	s_delay_alu instid0(SALU_CYCLE_2) | instskip(SKIP_2) | instid1(SALU_CYCLE_1)
	s_cvt_u32_f32 s8, s3
	s_sub_co_i32 s3, 0, s2
	s_wait_alu 0xfffe
	s_mul_i32 s3, s3, s8
	s_wait_alu 0xfffe
	s_mul_hi_u32 s9, s8, s3
	s_load_b32 s3, s[6:7], 0x0
	s_add_co_i32 s8, s8, s9
	s_delay_alu instid0(SALU_CYCLE_1) | instskip(NEXT) | instid1(SALU_CYCLE_1)
	s_lshr_b32 s6, s8, 24
	s_mul_i32 s7, s6, s2
	s_add_co_i32 s8, s6, 1
	s_sub_co_i32 s7, 0x100, s7
	s_delay_alu instid0(SALU_CYCLE_1)
	s_sub_co_i32 s9, s7, s2
	s_cmp_ge_u32 s7, s2
	s_cselect_b32 s6, s8, s6
	s_cselect_b32 s7, s9, s7
	s_add_co_i32 s8, s6, 1
	s_cmp_ge_u32 s7, s2
	s_cselect_b32 s6, s8, s6
	s_delay_alu instid0(SALU_CYCLE_1)
	s_add_co_i32 s6, s6, 1
	s_branch .LBB186_2
.LBB186_1:                              ;   in Loop: Header=BB186_2 Depth=1
	s_or_b32 exec_lo, exec_lo, s7
	s_add_co_i32 s3, s6, s3
	s_delay_alu instid0(VALU_DEP_1)
	v_add_f32_e32 v1, v1, v4
	s_add_co_i32 s2, s2, -1
	s_wait_alu 0xfffe
	s_and_b32 s3, s3, 0xff
	s_cmp_lg_u32 s2, 0
	s_wait_loadcnt 0x0
	s_barrier_signal -1
	s_barrier_wait -1
	global_inv scope:SCOPE_SE
	s_cbranch_scc0 .LBB186_4
.LBB186_2:                              ; =>This Inner Loop Header: Depth=1
	s_wait_loadcnt 0x0
	v_mov_b32_e32 v4, v1
	s_mov_b32 s7, exec_lo
	ds_store_b32 v2, v1 offset:1024
	s_wait_dscnt 0x0
	s_barrier_signal -1
	s_barrier_wait -1
	global_inv scope:SCOPE_SE
	s_wait_kmcnt 0x0
	s_wait_alu 0xfffe
	v_cmpx_gt_u32_e64 s3, v3
	s_cbranch_execz .LBB186_1
; %bb.3:                                ;   in Loop: Header=BB186_2 Depth=1
	ds_load_b32 v4, v2 offset:1028
	s_wait_dscnt 0x0
	v_sub_f32_e32 v4, v1, v4
	s_branch .LBB186_1
.LBB186_4:
	v_lshlrev_b32_e32 v0, 2, v0
	s_add_nc_u64 s[0:1], s[0:1], s[4:5]
	global_store_b32 v0, v1, s[0:1]
	s_endpgm
	.section	.rodata,"a",@progbits
	.p2align	6, 0x0
	.amdhsa_kernel _Z6kernelI27subtract_right_partial_tileLj256ELj1ELb0EJPfPiS1_jEEvDpT3_
		.amdhsa_group_segment_fixed_size 2048
		.amdhsa_private_segment_fixed_size 0
		.amdhsa_kernarg_size 28
		.amdhsa_user_sgpr_count 2
		.amdhsa_user_sgpr_dispatch_ptr 0
		.amdhsa_user_sgpr_queue_ptr 0
		.amdhsa_user_sgpr_kernarg_segment_ptr 1
		.amdhsa_user_sgpr_dispatch_id 0
		.amdhsa_user_sgpr_private_segment_size 0
		.amdhsa_wavefront_size32 1
		.amdhsa_uses_dynamic_stack 0
		.amdhsa_enable_private_segment 0
		.amdhsa_system_sgpr_workgroup_id_x 1
		.amdhsa_system_sgpr_workgroup_id_y 0
		.amdhsa_system_sgpr_workgroup_id_z 0
		.amdhsa_system_sgpr_workgroup_info 0
		.amdhsa_system_vgpr_workitem_id 0
		.amdhsa_next_free_vgpr 5
		.amdhsa_next_free_sgpr 12
		.amdhsa_reserve_vcc 0
		.amdhsa_float_round_mode_32 0
		.amdhsa_float_round_mode_16_64 0
		.amdhsa_float_denorm_mode_32 3
		.amdhsa_float_denorm_mode_16_64 3
		.amdhsa_fp16_overflow 0
		.amdhsa_workgroup_processor_mode 1
		.amdhsa_memory_ordered 1
		.amdhsa_forward_progress 1
		.amdhsa_inst_pref_size 3
		.amdhsa_round_robin_scheduling 0
		.amdhsa_exception_fp_ieee_invalid_op 0
		.amdhsa_exception_fp_denorm_src 0
		.amdhsa_exception_fp_ieee_div_zero 0
		.amdhsa_exception_fp_ieee_overflow 0
		.amdhsa_exception_fp_ieee_underflow 0
		.amdhsa_exception_fp_ieee_inexact 0
		.amdhsa_exception_int_div_zero 0
	.end_amdhsa_kernel
	.section	.text._Z6kernelI27subtract_right_partial_tileLj256ELj1ELb0EJPfPiS1_jEEvDpT3_,"axG",@progbits,_Z6kernelI27subtract_right_partial_tileLj256ELj1ELb0EJPfPiS1_jEEvDpT3_,comdat
.Lfunc_end186:
	.size	_Z6kernelI27subtract_right_partial_tileLj256ELj1ELb0EJPfPiS1_jEEvDpT3_, .Lfunc_end186-_Z6kernelI27subtract_right_partial_tileLj256ELj1ELb0EJPfPiS1_jEEvDpT3_
                                        ; -- End function
	.set _Z6kernelI27subtract_right_partial_tileLj256ELj1ELb0EJPfPiS1_jEEvDpT3_.num_vgpr, 5
	.set _Z6kernelI27subtract_right_partial_tileLj256ELj1ELb0EJPfPiS1_jEEvDpT3_.num_agpr, 0
	.set _Z6kernelI27subtract_right_partial_tileLj256ELj1ELb0EJPfPiS1_jEEvDpT3_.numbered_sgpr, 12
	.set _Z6kernelI27subtract_right_partial_tileLj256ELj1ELb0EJPfPiS1_jEEvDpT3_.num_named_barrier, 0
	.set _Z6kernelI27subtract_right_partial_tileLj256ELj1ELb0EJPfPiS1_jEEvDpT3_.private_seg_size, 0
	.set _Z6kernelI27subtract_right_partial_tileLj256ELj1ELb0EJPfPiS1_jEEvDpT3_.uses_vcc, 0
	.set _Z6kernelI27subtract_right_partial_tileLj256ELj1ELb0EJPfPiS1_jEEvDpT3_.uses_flat_scratch, 0
	.set _Z6kernelI27subtract_right_partial_tileLj256ELj1ELb0EJPfPiS1_jEEvDpT3_.has_dyn_sized_stack, 0
	.set _Z6kernelI27subtract_right_partial_tileLj256ELj1ELb0EJPfPiS1_jEEvDpT3_.has_recursion, 0
	.set _Z6kernelI27subtract_right_partial_tileLj256ELj1ELb0EJPfPiS1_jEEvDpT3_.has_indirect_call, 0
	.section	.AMDGPU.csdata,"",@progbits
; Kernel info:
; codeLenInByte = 380
; TotalNumSgprs: 12
; NumVgprs: 5
; ScratchSize: 0
; MemoryBound: 0
; FloatMode: 240
; IeeeMode: 1
; LDSByteSize: 2048 bytes/workgroup (compile time only)
; SGPRBlocks: 0
; VGPRBlocks: 0
; NumSGPRsForWavesPerEU: 12
; NumVGPRsForWavesPerEU: 5
; Occupancy: 16
; WaveLimiterHint : 0
; COMPUTE_PGM_RSRC2:SCRATCH_EN: 0
; COMPUTE_PGM_RSRC2:USER_SGPR: 2
; COMPUTE_PGM_RSRC2:TRAP_HANDLER: 0
; COMPUTE_PGM_RSRC2:TGID_X_EN: 1
; COMPUTE_PGM_RSRC2:TGID_Y_EN: 0
; COMPUTE_PGM_RSRC2:TGID_Z_EN: 0
; COMPUTE_PGM_RSRC2:TIDIG_COMP_CNT: 0
	.section	.text._Z6kernelI27subtract_right_partial_tileLj256ELj3ELb0EJPfPiS1_jEEvDpT3_,"axG",@progbits,_Z6kernelI27subtract_right_partial_tileLj256ELj3ELb0EJPfPiS1_jEEvDpT3_,comdat
	.protected	_Z6kernelI27subtract_right_partial_tileLj256ELj3ELb0EJPfPiS1_jEEvDpT3_ ; -- Begin function _Z6kernelI27subtract_right_partial_tileLj256ELj3ELb0EJPfPiS1_jEEvDpT3_
	.globl	_Z6kernelI27subtract_right_partial_tileLj256ELj3ELb0EJPfPiS1_jEEvDpT3_
	.p2align	8
	.type	_Z6kernelI27subtract_right_partial_tileLj256ELj3ELb0EJPfPiS1_jEEvDpT3_,@function
_Z6kernelI27subtract_right_partial_tileLj256ELj3ELb0EJPfPiS1_jEEvDpT3_: ; @_Z6kernelI27subtract_right_partial_tileLj256ELj3ELb0EJPfPiS1_jEEvDpT3_
; %bb.0:
	s_load_b128 s[8:11], s[0:1], 0x0
	s_mul_i32 s6, ttmp9, 0x300
	s_mov_b32 s7, 0
	v_lshlrev_b32_e32 v4, 2, v0
	s_lshl_b64 s[4:5], s[6:7], 2
	s_load_b96 s[0:2], s[0:1], 0x10
	v_mad_u32_u24 v6, v0, 3, 2
	v_mad_u32_u24 v7, v0, 3, 3
	s_wait_kmcnt 0x0
	s_add_nc_u64 s[8:9], s[8:9], s[4:5]
	s_clause 0x2
	global_load_b32 v1, v4, s[8:9]
	global_load_b32 v2, v4, s[8:9] offset:1024
	global_load_b32 v3, v4, s[8:9] offset:2048
	s_cvt_f32_u32 s3, s2
	s_sub_co_i32 s6, 0, s2
	s_delay_alu instid0(SALU_CYCLE_2) | instskip(NEXT) | instid1(TRANS32_DEP_1)
	v_rcp_iflag_f32_e32 v5, s3
	v_readfirstlane_b32 s3, v5
	v_mad_u32_u24 v5, v0, 3, 1
	s_mul_f32 s3, s3, 0x4f7ffffe
	s_wait_alu 0xfffe
	s_delay_alu instid0(SALU_CYCLE_2) | instskip(SKIP_1) | instid1(SALU_CYCLE_2)
	s_cvt_u32_f32 s3, s3
	s_wait_alu 0xfffe
	s_mul_i32 s8, s6, s3
	s_mov_b32 s6, ttmp9
	s_mul_hi_u32 s8, s3, s8
	s_lshl_b64 s[6:7], s[6:7], 2
	s_add_co_i32 s8, s3, s8
	s_add_nc_u64 s[6:7], s[10:11], s[6:7]
	s_load_b32 s3, s[6:7], 0x0
	s_mul_hi_u32 s6, s8, 0x300
	s_delay_alu instid0(SALU_CYCLE_1) | instskip(SKIP_2) | instid1(SALU_CYCLE_1)
	s_mul_i32 s7, s6, s2
	s_add_co_i32 s8, s6, 1
	s_sub_co_i32 s7, 0x300, s7
	s_sub_co_i32 s9, s7, s2
	s_cmp_ge_u32 s7, s2
	s_cselect_b32 s6, s8, s6
	s_cselect_b32 s7, s9, s7
	s_add_co_i32 s8, s6, 1
	s_cmp_ge_u32 s7, s2
	s_cselect_b32 s6, s8, s6
	s_delay_alu instid0(SALU_CYCLE_1)
	s_add_co_i32 s6, s6, 1
	s_branch .LBB187_2
.LBB187_1:                              ;   in Loop: Header=BB187_2 Depth=1
	s_or_b32 exec_lo, exec_lo, s7
	s_add_co_i32 s3, s6, s3
	v_dual_add_f32 v1, v1, v8 :: v_dual_add_f32 v2, v2, v9
	s_wait_alu 0xfffe
	s_mul_hi_u32 s7, s3, 0xaaaaaaab
	v_add_f32_e32 v3, v3, v10
	s_lshr_b32 s7, s7, 9
	s_add_co_i32 s2, s2, -1
	s_mulk_i32 s7, 0x300
	s_wait_loadcnt 0x0
	s_sub_co_i32 s3, s3, s7
	s_wait_alu 0xfffe
	s_cmp_lg_u32 s2, 0
	s_barrier_signal -1
	s_barrier_wait -1
	global_inv scope:SCOPE_SE
	s_cbranch_scc0 .LBB187_4
.LBB187_2:                              ; =>This Inner Loop Header: Depth=1
	s_wait_loadcnt 0x0
	v_dual_sub_f32 v8, v1, v2 :: v_dual_sub_f32 v9, v2, v3
	s_wait_kmcnt 0x0
	v_cmp_gt_u32_e32 vcc_lo, s3, v5
	v_mov_b32_e32 v10, v3
	s_mov_b32 s7, exec_lo
	ds_store_b32 v4, v1 offset:1024
	s_wait_dscnt 0x0
	s_wait_alu 0xfffd
	v_cndmask_b32_e32 v8, v1, v8, vcc_lo
	v_cmp_gt_u32_e32 vcc_lo, s3, v6
	s_barrier_signal -1
	s_barrier_wait -1
	global_inv scope:SCOPE_SE
	s_wait_alu 0xfffd
	v_cndmask_b32_e32 v9, v2, v9, vcc_lo
	v_cmpx_gt_u32_e64 s3, v7
	s_cbranch_execz .LBB187_1
; %bb.3:                                ;   in Loop: Header=BB187_2 Depth=1
	ds_load_b32 v10, v4 offset:1028
	s_wait_dscnt 0x0
	v_sub_f32_e32 v10, v3, v10
	s_branch .LBB187_1
.LBB187_4:
	v_lshlrev_b32_e32 v0, 2, v0
	s_add_nc_u64 s[0:1], s[0:1], s[4:5]
	s_clause 0x2
	global_store_b32 v0, v1, s[0:1]
	global_store_b32 v0, v2, s[0:1] offset:1024
	global_store_b32 v0, v3, s[0:1] offset:2048
	s_endpgm
	.section	.rodata,"a",@progbits
	.p2align	6, 0x0
	.amdhsa_kernel _Z6kernelI27subtract_right_partial_tileLj256ELj3ELb0EJPfPiS1_jEEvDpT3_
		.amdhsa_group_segment_fixed_size 2048
		.amdhsa_private_segment_fixed_size 0
		.amdhsa_kernarg_size 28
		.amdhsa_user_sgpr_count 2
		.amdhsa_user_sgpr_dispatch_ptr 0
		.amdhsa_user_sgpr_queue_ptr 0
		.amdhsa_user_sgpr_kernarg_segment_ptr 1
		.amdhsa_user_sgpr_dispatch_id 0
		.amdhsa_user_sgpr_private_segment_size 0
		.amdhsa_wavefront_size32 1
		.amdhsa_uses_dynamic_stack 0
		.amdhsa_enable_private_segment 0
		.amdhsa_system_sgpr_workgroup_id_x 1
		.amdhsa_system_sgpr_workgroup_id_y 0
		.amdhsa_system_sgpr_workgroup_id_z 0
		.amdhsa_system_sgpr_workgroup_info 0
		.amdhsa_system_vgpr_workitem_id 0
		.amdhsa_next_free_vgpr 11
		.amdhsa_next_free_sgpr 12
		.amdhsa_reserve_vcc 1
		.amdhsa_float_round_mode_32 0
		.amdhsa_float_round_mode_16_64 0
		.amdhsa_float_denorm_mode_32 3
		.amdhsa_float_denorm_mode_16_64 3
		.amdhsa_fp16_overflow 0
		.amdhsa_workgroup_processor_mode 1
		.amdhsa_memory_ordered 1
		.amdhsa_forward_progress 1
		.amdhsa_inst_pref_size 4
		.amdhsa_round_robin_scheduling 0
		.amdhsa_exception_fp_ieee_invalid_op 0
		.amdhsa_exception_fp_denorm_src 0
		.amdhsa_exception_fp_ieee_div_zero 0
		.amdhsa_exception_fp_ieee_overflow 0
		.amdhsa_exception_fp_ieee_underflow 0
		.amdhsa_exception_fp_ieee_inexact 0
		.amdhsa_exception_int_div_zero 0
	.end_amdhsa_kernel
	.section	.text._Z6kernelI27subtract_right_partial_tileLj256ELj3ELb0EJPfPiS1_jEEvDpT3_,"axG",@progbits,_Z6kernelI27subtract_right_partial_tileLj256ELj3ELb0EJPfPiS1_jEEvDpT3_,comdat
.Lfunc_end187:
	.size	_Z6kernelI27subtract_right_partial_tileLj256ELj3ELb0EJPfPiS1_jEEvDpT3_, .Lfunc_end187-_Z6kernelI27subtract_right_partial_tileLj256ELj3ELb0EJPfPiS1_jEEvDpT3_
                                        ; -- End function
	.set _Z6kernelI27subtract_right_partial_tileLj256ELj3ELb0EJPfPiS1_jEEvDpT3_.num_vgpr, 11
	.set _Z6kernelI27subtract_right_partial_tileLj256ELj3ELb0EJPfPiS1_jEEvDpT3_.num_agpr, 0
	.set _Z6kernelI27subtract_right_partial_tileLj256ELj3ELb0EJPfPiS1_jEEvDpT3_.numbered_sgpr, 12
	.set _Z6kernelI27subtract_right_partial_tileLj256ELj3ELb0EJPfPiS1_jEEvDpT3_.num_named_barrier, 0
	.set _Z6kernelI27subtract_right_partial_tileLj256ELj3ELb0EJPfPiS1_jEEvDpT3_.private_seg_size, 0
	.set _Z6kernelI27subtract_right_partial_tileLj256ELj3ELb0EJPfPiS1_jEEvDpT3_.uses_vcc, 1
	.set _Z6kernelI27subtract_right_partial_tileLj256ELj3ELb0EJPfPiS1_jEEvDpT3_.uses_flat_scratch, 0
	.set _Z6kernelI27subtract_right_partial_tileLj256ELj3ELb0EJPfPiS1_jEEvDpT3_.has_dyn_sized_stack, 0
	.set _Z6kernelI27subtract_right_partial_tileLj256ELj3ELb0EJPfPiS1_jEEvDpT3_.has_recursion, 0
	.set _Z6kernelI27subtract_right_partial_tileLj256ELj3ELb0EJPfPiS1_jEEvDpT3_.has_indirect_call, 0
	.section	.AMDGPU.csdata,"",@progbits
; Kernel info:
; codeLenInByte = 500
; TotalNumSgprs: 14
; NumVgprs: 11
; ScratchSize: 0
; MemoryBound: 0
; FloatMode: 240
; IeeeMode: 1
; LDSByteSize: 2048 bytes/workgroup (compile time only)
; SGPRBlocks: 0
; VGPRBlocks: 1
; NumSGPRsForWavesPerEU: 14
; NumVGPRsForWavesPerEU: 11
; Occupancy: 16
; WaveLimiterHint : 1
; COMPUTE_PGM_RSRC2:SCRATCH_EN: 0
; COMPUTE_PGM_RSRC2:USER_SGPR: 2
; COMPUTE_PGM_RSRC2:TRAP_HANDLER: 0
; COMPUTE_PGM_RSRC2:TGID_X_EN: 1
; COMPUTE_PGM_RSRC2:TGID_Y_EN: 0
; COMPUTE_PGM_RSRC2:TGID_Z_EN: 0
; COMPUTE_PGM_RSRC2:TIDIG_COMP_CNT: 0
	.section	.text._Z6kernelI27subtract_right_partial_tileLj256ELj4ELb0EJPfPiS1_jEEvDpT3_,"axG",@progbits,_Z6kernelI27subtract_right_partial_tileLj256ELj4ELb0EJPfPiS1_jEEvDpT3_,comdat
	.protected	_Z6kernelI27subtract_right_partial_tileLj256ELj4ELb0EJPfPiS1_jEEvDpT3_ ; -- Begin function _Z6kernelI27subtract_right_partial_tileLj256ELj4ELb0EJPfPiS1_jEEvDpT3_
	.globl	_Z6kernelI27subtract_right_partial_tileLj256ELj4ELb0EJPfPiS1_jEEvDpT3_
	.p2align	8
	.type	_Z6kernelI27subtract_right_partial_tileLj256ELj4ELb0EJPfPiS1_jEEvDpT3_,@function
_Z6kernelI27subtract_right_partial_tileLj256ELj4ELb0EJPfPiS1_jEEvDpT3_: ; @_Z6kernelI27subtract_right_partial_tileLj256ELj4ELb0EJPfPiS1_jEEvDpT3_
; %bb.0:
	s_load_b128 s[8:11], s[0:1], 0x0
	s_lshl_b32 s6, ttmp9, 10
	s_mov_b32 s7, 0
	v_lshlrev_b32_e32 v5, 2, v0
	s_lshl_b64 s[4:5], s[6:7], 2
	s_load_b96 s[0:2], s[0:1], 0x10
	s_delay_alu instid0(VALU_DEP_1)
	v_or_b32_e32 v7, 2, v5
	v_or_b32_e32 v8, 3, v5
	v_add_nc_u32_e32 v9, 4, v5
	s_wait_kmcnt 0x0
	s_add_nc_u64 s[8:9], s[8:9], s[4:5]
	s_clause 0x3
	global_load_b32 v1, v5, s[8:9]
	global_load_b32 v2, v5, s[8:9] offset:1024
	global_load_b32 v3, v5, s[8:9] offset:2048
	;; [unrolled: 1-line block ×3, first 2 shown]
	s_cvt_f32_u32 s3, s2
	s_sub_co_i32 s6, 0, s2
	s_delay_alu instid0(SALU_CYCLE_2) | instskip(NEXT) | instid1(TRANS32_DEP_1)
	v_rcp_iflag_f32_e32 v6, s3
	v_readfirstlane_b32 s3, v6
	v_or_b32_e32 v6, 1, v5
	s_mul_f32 s3, s3, 0x4f7ffffe
	s_wait_alu 0xfffe
	s_delay_alu instid0(SALU_CYCLE_2) | instskip(SKIP_1) | instid1(SALU_CYCLE_2)
	s_cvt_u32_f32 s3, s3
	s_wait_alu 0xfffe
	s_mul_i32 s6, s6, s3
	s_delay_alu instid0(SALU_CYCLE_1)
	s_mul_hi_u32 s8, s3, s6
	s_mov_b32 s6, ttmp9
	s_add_co_i32 s3, s3, s8
	s_lshl_b64 s[6:7], s[6:7], 2
	s_wait_alu 0xfffe
	s_lshr_b32 s8, s3, 22
	s_add_nc_u64 s[6:7], s[10:11], s[6:7]
	s_load_b32 s3, s[6:7], 0x0
	s_mul_i32 s6, s8, s2
	s_add_co_i32 s7, s8, 1
	s_sub_co_i32 s6, 0x400, s6
	s_delay_alu instid0(SALU_CYCLE_1)
	s_sub_co_i32 s9, s6, s2
	s_cmp_ge_u32 s6, s2
	s_cselect_b32 s7, s7, s8
	s_cselect_b32 s6, s9, s6
	s_add_co_i32 s8, s7, 1
	s_cmp_ge_u32 s6, s2
	s_cselect_b32 s6, s8, s7
	s_delay_alu instid0(SALU_CYCLE_1)
	s_add_co_i32 s6, s6, 1
	s_branch .LBB188_2
.LBB188_1:                              ;   in Loop: Header=BB188_2 Depth=1
	s_or_b32 exec_lo, exec_lo, s7
	v_dual_add_f32 v1, v1, v10 :: v_dual_add_f32 v2, v2, v11
	s_delay_alu instid0(VALU_DEP_2)
	v_dual_add_f32 v3, v3, v12 :: v_dual_add_f32 v4, v4, v13
	s_add_co_i32 s3, s6, s3
	s_add_co_i32 s2, s2, -1
	s_wait_alu 0xfffe
	s_and_b32 s3, s3, 0x3ff
	s_cmp_lg_u32 s2, 0
	s_wait_loadcnt 0x0
	s_barrier_signal -1
	s_barrier_wait -1
	global_inv scope:SCOPE_SE
	s_cbranch_scc0 .LBB188_4
.LBB188_2:                              ; =>This Inner Loop Header: Depth=1
	s_wait_loadcnt 0x1
	v_dual_sub_f32 v10, v1, v2 :: v_dual_sub_f32 v11, v2, v3
	s_wait_kmcnt 0x0
	s_wait_alu 0xfffe
	v_cmp_gt_u32_e32 vcc_lo, s3, v6
	s_mov_b32 s7, exec_lo
	ds_store_b32 v5, v1 offset:1024
	s_wait_loadcnt 0x0
	v_mov_b32_e32 v13, v4
	s_wait_dscnt 0x0
	s_wait_alu 0xfffd
	v_cndmask_b32_e32 v10, v1, v10, vcc_lo
	v_cmp_gt_u32_e32 vcc_lo, s3, v7
	v_sub_f32_e32 v12, v3, v4
	s_barrier_signal -1
	s_barrier_wait -1
	global_inv scope:SCOPE_SE
	s_wait_alu 0xfffd
	v_cndmask_b32_e32 v11, v2, v11, vcc_lo
	v_cmp_gt_u32_e32 vcc_lo, s3, v8
	s_wait_alu 0xfffd
	v_cndmask_b32_e32 v12, v3, v12, vcc_lo
	v_cmpx_gt_u32_e64 s3, v9
	s_cbranch_execz .LBB188_1
; %bb.3:                                ;   in Loop: Header=BB188_2 Depth=1
	ds_load_b32 v13, v5 offset:1028
	s_wait_dscnt 0x0
	v_sub_f32_e32 v13, v4, v13
	s_branch .LBB188_1
.LBB188_4:
	v_lshlrev_b32_e32 v0, 2, v0
	s_add_nc_u64 s[0:1], s[0:1], s[4:5]
	s_clause 0x3
	global_store_b32 v0, v1, s[0:1]
	global_store_b32 v0, v2, s[0:1] offset:1024
	global_store_b32 v0, v3, s[0:1] offset:2048
	;; [unrolled: 1-line block ×3, first 2 shown]
	s_endpgm
	.section	.rodata,"a",@progbits
	.p2align	6, 0x0
	.amdhsa_kernel _Z6kernelI27subtract_right_partial_tileLj256ELj4ELb0EJPfPiS1_jEEvDpT3_
		.amdhsa_group_segment_fixed_size 2048
		.amdhsa_private_segment_fixed_size 0
		.amdhsa_kernarg_size 28
		.amdhsa_user_sgpr_count 2
		.amdhsa_user_sgpr_dispatch_ptr 0
		.amdhsa_user_sgpr_queue_ptr 0
		.amdhsa_user_sgpr_kernarg_segment_ptr 1
		.amdhsa_user_sgpr_dispatch_id 0
		.amdhsa_user_sgpr_private_segment_size 0
		.amdhsa_wavefront_size32 1
		.amdhsa_uses_dynamic_stack 0
		.amdhsa_enable_private_segment 0
		.amdhsa_system_sgpr_workgroup_id_x 1
		.amdhsa_system_sgpr_workgroup_id_y 0
		.amdhsa_system_sgpr_workgroup_id_z 0
		.amdhsa_system_sgpr_workgroup_info 0
		.amdhsa_system_vgpr_workitem_id 0
		.amdhsa_next_free_vgpr 14
		.amdhsa_next_free_sgpr 12
		.amdhsa_reserve_vcc 1
		.amdhsa_float_round_mode_32 0
		.amdhsa_float_round_mode_16_64 0
		.amdhsa_float_denorm_mode_32 3
		.amdhsa_float_denorm_mode_16_64 3
		.amdhsa_fp16_overflow 0
		.amdhsa_workgroup_processor_mode 1
		.amdhsa_memory_ordered 1
		.amdhsa_forward_progress 1
		.amdhsa_inst_pref_size 5
		.amdhsa_round_robin_scheduling 0
		.amdhsa_exception_fp_ieee_invalid_op 0
		.amdhsa_exception_fp_denorm_src 0
		.amdhsa_exception_fp_ieee_div_zero 0
		.amdhsa_exception_fp_ieee_overflow 0
		.amdhsa_exception_fp_ieee_underflow 0
		.amdhsa_exception_fp_ieee_inexact 0
		.amdhsa_exception_int_div_zero 0
	.end_amdhsa_kernel
	.section	.text._Z6kernelI27subtract_right_partial_tileLj256ELj4ELb0EJPfPiS1_jEEvDpT3_,"axG",@progbits,_Z6kernelI27subtract_right_partial_tileLj256ELj4ELb0EJPfPiS1_jEEvDpT3_,comdat
.Lfunc_end188:
	.size	_Z6kernelI27subtract_right_partial_tileLj256ELj4ELb0EJPfPiS1_jEEvDpT3_, .Lfunc_end188-_Z6kernelI27subtract_right_partial_tileLj256ELj4ELb0EJPfPiS1_jEEvDpT3_
                                        ; -- End function
	.set _Z6kernelI27subtract_right_partial_tileLj256ELj4ELb0EJPfPiS1_jEEvDpT3_.num_vgpr, 14
	.set _Z6kernelI27subtract_right_partial_tileLj256ELj4ELb0EJPfPiS1_jEEvDpT3_.num_agpr, 0
	.set _Z6kernelI27subtract_right_partial_tileLj256ELj4ELb0EJPfPiS1_jEEvDpT3_.numbered_sgpr, 12
	.set _Z6kernelI27subtract_right_partial_tileLj256ELj4ELb0EJPfPiS1_jEEvDpT3_.num_named_barrier, 0
	.set _Z6kernelI27subtract_right_partial_tileLj256ELj4ELb0EJPfPiS1_jEEvDpT3_.private_seg_size, 0
	.set _Z6kernelI27subtract_right_partial_tileLj256ELj4ELb0EJPfPiS1_jEEvDpT3_.uses_vcc, 1
	.set _Z6kernelI27subtract_right_partial_tileLj256ELj4ELb0EJPfPiS1_jEEvDpT3_.uses_flat_scratch, 0
	.set _Z6kernelI27subtract_right_partial_tileLj256ELj4ELb0EJPfPiS1_jEEvDpT3_.has_dyn_sized_stack, 0
	.set _Z6kernelI27subtract_right_partial_tileLj256ELj4ELb0EJPfPiS1_jEEvDpT3_.has_recursion, 0
	.set _Z6kernelI27subtract_right_partial_tileLj256ELj4ELb0EJPfPiS1_jEEvDpT3_.has_indirect_call, 0
	.section	.AMDGPU.csdata,"",@progbits
; Kernel info:
; codeLenInByte = 536
; TotalNumSgprs: 14
; NumVgprs: 14
; ScratchSize: 0
; MemoryBound: 0
; FloatMode: 240
; IeeeMode: 1
; LDSByteSize: 2048 bytes/workgroup (compile time only)
; SGPRBlocks: 0
; VGPRBlocks: 1
; NumSGPRsForWavesPerEU: 14
; NumVGPRsForWavesPerEU: 14
; Occupancy: 16
; WaveLimiterHint : 1
; COMPUTE_PGM_RSRC2:SCRATCH_EN: 0
; COMPUTE_PGM_RSRC2:USER_SGPR: 2
; COMPUTE_PGM_RSRC2:TRAP_HANDLER: 0
; COMPUTE_PGM_RSRC2:TGID_X_EN: 1
; COMPUTE_PGM_RSRC2:TGID_Y_EN: 0
; COMPUTE_PGM_RSRC2:TGID_Z_EN: 0
; COMPUTE_PGM_RSRC2:TIDIG_COMP_CNT: 0
	.section	.text._Z6kernelI27subtract_right_partial_tileLj256ELj8ELb0EJPfPiS1_jEEvDpT3_,"axG",@progbits,_Z6kernelI27subtract_right_partial_tileLj256ELj8ELb0EJPfPiS1_jEEvDpT3_,comdat
	.protected	_Z6kernelI27subtract_right_partial_tileLj256ELj8ELb0EJPfPiS1_jEEvDpT3_ ; -- Begin function _Z6kernelI27subtract_right_partial_tileLj256ELj8ELb0EJPfPiS1_jEEvDpT3_
	.globl	_Z6kernelI27subtract_right_partial_tileLj256ELj8ELb0EJPfPiS1_jEEvDpT3_
	.p2align	8
	.type	_Z6kernelI27subtract_right_partial_tileLj256ELj8ELb0EJPfPiS1_jEEvDpT3_,@function
_Z6kernelI27subtract_right_partial_tileLj256ELj8ELb0EJPfPiS1_jEEvDpT3_: ; @_Z6kernelI27subtract_right_partial_tileLj256ELj8ELb0EJPfPiS1_jEEvDpT3_
; %bb.0:
	s_load_b128 s[8:11], s[0:1], 0x0
	s_lshl_b32 s6, ttmp9, 11
	s_mov_b32 s7, 0
	v_lshlrev_b32_e32 v9, 2, v0
	s_lshl_b64 s[4:5], s[6:7], 2
	s_load_b96 s[0:2], s[0:1], 0x10
	v_lshlrev_b32_e32 v17, 3, v0
	s_delay_alu instid0(VALU_DEP_1)
	v_or_b32_e32 v11, 2, v17
	v_or_b32_e32 v12, 3, v17
	v_or_b32_e32 v13, 4, v17
	v_or_b32_e32 v14, 5, v17
	v_or_b32_e32 v15, 6, v17
	v_or_b32_e32 v16, 7, v17
	s_wait_kmcnt 0x0
	s_add_nc_u64 s[8:9], s[8:9], s[4:5]
	s_clause 0x7
	global_load_b32 v1, v9, s[8:9]
	global_load_b32 v2, v9, s[8:9] offset:1024
	global_load_b32 v3, v9, s[8:9] offset:2048
	;; [unrolled: 1-line block ×7, first 2 shown]
	s_cvt_f32_u32 s3, s2
	s_sub_co_i32 s6, 0, s2
	s_delay_alu instid0(SALU_CYCLE_2) | instskip(NEXT) | instid1(TRANS32_DEP_1)
	v_rcp_iflag_f32_e32 v10, s3
	v_readfirstlane_b32 s3, v10
	v_or_b32_e32 v10, 1, v17
	v_add_nc_u32_e32 v17, 8, v17
	s_mul_f32 s3, s3, 0x4f7ffffe
	s_wait_alu 0xfffe
	s_delay_alu instid0(SALU_CYCLE_2) | instskip(SKIP_1) | instid1(SALU_CYCLE_2)
	s_cvt_u32_f32 s3, s3
	s_wait_alu 0xfffe
	s_mul_i32 s6, s6, s3
	s_delay_alu instid0(SALU_CYCLE_1) | instskip(NEXT) | instid1(SALU_CYCLE_1)
	s_mul_hi_u32 s6, s3, s6
	s_add_co_i32 s3, s3, s6
	s_mov_b32 s6, ttmp9
	s_wait_alu 0xfffe
	s_lshr_b32 s8, s3, 21
	s_lshl_b64 s[6:7], s[6:7], 2
	s_mul_i32 s9, s8, s2
	s_add_nc_u64 s[6:7], s[10:11], s[6:7]
	s_load_b32 s3, s[6:7], 0x0
	s_sub_co_i32 s6, 0x800, s9
	s_add_co_i32 s7, s8, 1
	s_sub_co_i32 s9, s6, s2
	s_cmp_ge_u32 s6, s2
	s_cselect_b32 s7, s7, s8
	s_cselect_b32 s6, s9, s6
	s_add_co_i32 s8, s7, 1
	s_cmp_ge_u32 s6, s2
	s_cselect_b32 s6, s8, s7
	s_delay_alu instid0(SALU_CYCLE_1)
	s_add_co_i32 s6, s6, 1
	s_branch .LBB189_2
.LBB189_1:                              ;   in Loop: Header=BB189_2 Depth=1
	s_or_b32 exec_lo, exec_lo, s7
	v_dual_sub_f32 v19, v1, v2 :: v_dual_sub_f32 v20, v2, v3
	v_cmp_gt_u32_e32 vcc_lo, s3, v10
	v_dual_sub_f32 v21, v3, v4 :: v_dual_sub_f32 v22, v4, v5
	v_dual_sub_f32 v23, v5, v6 :: v_dual_sub_f32 v24, v6, v7
	s_wait_alu 0xfffd
	v_cndmask_b32_e32 v19, v1, v19, vcc_lo
	v_cmp_gt_u32_e32 vcc_lo, s3, v11
	s_add_co_i32 s2, s2, -1
	s_wait_loadcnt 0x0
	s_barrier_signal -1
	s_barrier_wait -1
	s_wait_alu 0xfffd
	v_cndmask_b32_e32 v20, v2, v20, vcc_lo
	v_cmp_gt_u32_e32 vcc_lo, s3, v12
	global_inv scope:SCOPE_SE
	s_wait_alu 0xfffd
	v_dual_add_f32 v2, v2, v20 :: v_dual_cndmask_b32 v21, v3, v21
	v_cmp_gt_u32_e32 vcc_lo, s3, v13
	s_wait_alu 0xfffd
	v_cndmask_b32_e32 v22, v4, v22, vcc_lo
	v_cmp_gt_u32_e32 vcc_lo, s3, v14
	v_sub_f32_e32 v25, v7, v8
	v_dual_add_f32 v3, v3, v21 :: v_dual_add_f32 v8, v8, v18
	s_wait_alu 0xfffd
	v_dual_add_f32 v4, v4, v22 :: v_dual_cndmask_b32 v23, v5, v23
	v_cmp_gt_u32_e32 vcc_lo, s3, v15
	s_wait_alu 0xfffd
	v_cndmask_b32_e32 v24, v6, v24, vcc_lo
	v_cmp_gt_u32_e32 vcc_lo, s3, v16
	v_add_f32_e32 v1, v1, v19
	v_add_f32_e32 v5, v5, v23
	s_add_co_i32 s3, s6, s3
	s_wait_alu 0xfffd
	v_dual_add_f32 v6, v6, v24 :: v_dual_cndmask_b32 v25, v7, v25
	s_wait_alu 0xfffe
	s_and_b32 s3, s3, 0x7ff
	s_cmp_lg_u32 s2, 0
	s_delay_alu instid0(VALU_DEP_1)
	v_add_f32_e32 v7, v7, v25
	s_cbranch_scc0 .LBB189_4
.LBB189_2:                              ; =>This Inner Loop Header: Depth=1
	s_wait_loadcnt 0x0
	v_mov_b32_e32 v18, v8
	s_mov_b32 s7, exec_lo
	ds_store_b32 v9, v1 offset:1024
	s_wait_dscnt 0x0
	s_barrier_signal -1
	s_barrier_wait -1
	global_inv scope:SCOPE_SE
	s_wait_kmcnt 0x0
	s_wait_alu 0xfffe
	v_cmpx_gt_u32_e64 s3, v17
	s_cbranch_execz .LBB189_1
; %bb.3:                                ;   in Loop: Header=BB189_2 Depth=1
	ds_load_b32 v18, v9 offset:1028
	s_wait_dscnt 0x0
	v_sub_f32_e32 v18, v8, v18
	s_branch .LBB189_1
.LBB189_4:
	v_lshlrev_b32_e32 v0, 2, v0
	s_add_nc_u64 s[0:1], s[0:1], s[4:5]
	s_clause 0x7
	global_store_b32 v0, v1, s[0:1]
	global_store_b32 v0, v2, s[0:1] offset:1024
	global_store_b32 v0, v3, s[0:1] offset:2048
	;; [unrolled: 1-line block ×7, first 2 shown]
	s_endpgm
	.section	.rodata,"a",@progbits
	.p2align	6, 0x0
	.amdhsa_kernel _Z6kernelI27subtract_right_partial_tileLj256ELj8ELb0EJPfPiS1_jEEvDpT3_
		.amdhsa_group_segment_fixed_size 2048
		.amdhsa_private_segment_fixed_size 0
		.amdhsa_kernarg_size 28
		.amdhsa_user_sgpr_count 2
		.amdhsa_user_sgpr_dispatch_ptr 0
		.amdhsa_user_sgpr_queue_ptr 0
		.amdhsa_user_sgpr_kernarg_segment_ptr 1
		.amdhsa_user_sgpr_dispatch_id 0
		.amdhsa_user_sgpr_private_segment_size 0
		.amdhsa_wavefront_size32 1
		.amdhsa_uses_dynamic_stack 0
		.amdhsa_enable_private_segment 0
		.amdhsa_system_sgpr_workgroup_id_x 1
		.amdhsa_system_sgpr_workgroup_id_y 0
		.amdhsa_system_sgpr_workgroup_id_z 0
		.amdhsa_system_sgpr_workgroup_info 0
		.amdhsa_system_vgpr_workitem_id 0
		.amdhsa_next_free_vgpr 26
		.amdhsa_next_free_sgpr 12
		.amdhsa_reserve_vcc 1
		.amdhsa_float_round_mode_32 0
		.amdhsa_float_round_mode_16_64 0
		.amdhsa_float_denorm_mode_32 3
		.amdhsa_float_denorm_mode_16_64 3
		.amdhsa_fp16_overflow 0
		.amdhsa_workgroup_processor_mode 1
		.amdhsa_memory_ordered 1
		.amdhsa_forward_progress 1
		.amdhsa_inst_pref_size 6
		.amdhsa_round_robin_scheduling 0
		.amdhsa_exception_fp_ieee_invalid_op 0
		.amdhsa_exception_fp_denorm_src 0
		.amdhsa_exception_fp_ieee_div_zero 0
		.amdhsa_exception_fp_ieee_overflow 0
		.amdhsa_exception_fp_ieee_underflow 0
		.amdhsa_exception_fp_ieee_inexact 0
		.amdhsa_exception_int_div_zero 0
	.end_amdhsa_kernel
	.section	.text._Z6kernelI27subtract_right_partial_tileLj256ELj8ELb0EJPfPiS1_jEEvDpT3_,"axG",@progbits,_Z6kernelI27subtract_right_partial_tileLj256ELj8ELb0EJPfPiS1_jEEvDpT3_,comdat
.Lfunc_end189:
	.size	_Z6kernelI27subtract_right_partial_tileLj256ELj8ELb0EJPfPiS1_jEEvDpT3_, .Lfunc_end189-_Z6kernelI27subtract_right_partial_tileLj256ELj8ELb0EJPfPiS1_jEEvDpT3_
                                        ; -- End function
	.set _Z6kernelI27subtract_right_partial_tileLj256ELj8ELb0EJPfPiS1_jEEvDpT3_.num_vgpr, 26
	.set _Z6kernelI27subtract_right_partial_tileLj256ELj8ELb0EJPfPiS1_jEEvDpT3_.num_agpr, 0
	.set _Z6kernelI27subtract_right_partial_tileLj256ELj8ELb0EJPfPiS1_jEEvDpT3_.numbered_sgpr, 12
	.set _Z6kernelI27subtract_right_partial_tileLj256ELj8ELb0EJPfPiS1_jEEvDpT3_.num_named_barrier, 0
	.set _Z6kernelI27subtract_right_partial_tileLj256ELj8ELb0EJPfPiS1_jEEvDpT3_.private_seg_size, 0
	.set _Z6kernelI27subtract_right_partial_tileLj256ELj8ELb0EJPfPiS1_jEEvDpT3_.uses_vcc, 1
	.set _Z6kernelI27subtract_right_partial_tileLj256ELj8ELb0EJPfPiS1_jEEvDpT3_.uses_flat_scratch, 0
	.set _Z6kernelI27subtract_right_partial_tileLj256ELj8ELb0EJPfPiS1_jEEvDpT3_.has_dyn_sized_stack, 0
	.set _Z6kernelI27subtract_right_partial_tileLj256ELj8ELb0EJPfPiS1_jEEvDpT3_.has_recursion, 0
	.set _Z6kernelI27subtract_right_partial_tileLj256ELj8ELb0EJPfPiS1_jEEvDpT3_.has_indirect_call, 0
	.section	.AMDGPU.csdata,"",@progbits
; Kernel info:
; codeLenInByte = 724
; TotalNumSgprs: 14
; NumVgprs: 26
; ScratchSize: 0
; MemoryBound: 0
; FloatMode: 240
; IeeeMode: 1
; LDSByteSize: 2048 bytes/workgroup (compile time only)
; SGPRBlocks: 0
; VGPRBlocks: 3
; NumSGPRsForWavesPerEU: 14
; NumVGPRsForWavesPerEU: 26
; Occupancy: 16
; WaveLimiterHint : 1
; COMPUTE_PGM_RSRC2:SCRATCH_EN: 0
; COMPUTE_PGM_RSRC2:USER_SGPR: 2
; COMPUTE_PGM_RSRC2:TRAP_HANDLER: 0
; COMPUTE_PGM_RSRC2:TGID_X_EN: 1
; COMPUTE_PGM_RSRC2:TGID_Y_EN: 0
; COMPUTE_PGM_RSRC2:TGID_Z_EN: 0
; COMPUTE_PGM_RSRC2:TIDIG_COMP_CNT: 0
	.section	.text._Z6kernelI27subtract_right_partial_tileLj256ELj16ELb0EJPfPiS1_jEEvDpT3_,"axG",@progbits,_Z6kernelI27subtract_right_partial_tileLj256ELj16ELb0EJPfPiS1_jEEvDpT3_,comdat
	.protected	_Z6kernelI27subtract_right_partial_tileLj256ELj16ELb0EJPfPiS1_jEEvDpT3_ ; -- Begin function _Z6kernelI27subtract_right_partial_tileLj256ELj16ELb0EJPfPiS1_jEEvDpT3_
	.globl	_Z6kernelI27subtract_right_partial_tileLj256ELj16ELb0EJPfPiS1_jEEvDpT3_
	.p2align	8
	.type	_Z6kernelI27subtract_right_partial_tileLj256ELj16ELb0EJPfPiS1_jEEvDpT3_,@function
_Z6kernelI27subtract_right_partial_tileLj256ELj16ELb0EJPfPiS1_jEEvDpT3_: ; @_Z6kernelI27subtract_right_partial_tileLj256ELj16ELb0EJPfPiS1_jEEvDpT3_
; %bb.0:
	s_load_b128 s[4:7], s[0:1], 0x0
	s_lshl_b32 s10, ttmp9, 12
	s_mov_b32 s11, 0
	v_lshlrev_b32_e32 v17, 2, v0
	s_lshl_b64 s[8:9], s[10:11], 2
	s_load_b96 s[0:2], s[0:1], 0x10
	s_mov_b32 s10, ttmp9
	v_lshlrev_b32_e32 v33, 4, v0
	s_delay_alu instid0(VALU_DEP_1)
	v_or_b32_e32 v19, 2, v33
	v_or_b32_e32 v20, 3, v33
	v_or_b32_e32 v21, 4, v33
	v_or_b32_e32 v22, 5, v33
	v_or_b32_e32 v23, 6, v33
	v_or_b32_e32 v24, 7, v33
	v_or_b32_e32 v25, 8, v33
	v_or_b32_e32 v26, 9, v33
	s_wait_kmcnt 0x0
	s_add_nc_u64 s[4:5], s[4:5], s[8:9]
	v_or_b32_e32 v27, 10, v33
	s_clause 0xf
	global_load_b32 v16, v17, s[4:5]
	global_load_b32 v15, v17, s[4:5] offset:1024
	global_load_b32 v14, v17, s[4:5] offset:2048
	global_load_b32 v13, v17, s[4:5] offset:3072
	global_load_b32 v12, v17, s[4:5] offset:4096
	global_load_b32 v11, v17, s[4:5] offset:5120
	global_load_b32 v10, v17, s[4:5] offset:6144
	global_load_b32 v9, v17, s[4:5] offset:7168
	global_load_b32 v8, v17, s[4:5] offset:8192
	global_load_b32 v7, v17, s[4:5] offset:9216
	global_load_b32 v6, v17, s[4:5] offset:10240
	global_load_b32 v5, v17, s[4:5] offset:11264
	global_load_b32 v4, v17, s[4:5] offset:12288
	global_load_b32 v3, v17, s[4:5] offset:13312
	global_load_b32 v2, v17, s[4:5] offset:14336
	global_load_b32 v1, v17, s[4:5] offset:15360
	v_or_b32_e32 v28, 11, v33
	v_or_b32_e32 v29, 12, v33
	s_cvt_f32_u32 s3, s2
	s_sub_co_i32 s4, 0, s2
	v_or_b32_e32 v30, 13, v33
	v_or_b32_e32 v31, 14, v33
	v_rcp_iflag_f32_e32 v18, s3
	v_or_b32_e32 v32, 15, v33
	s_delay_alu instid0(TRANS32_DEP_1) | instskip(SKIP_4) | instid1(SALU_CYCLE_2)
	v_readfirstlane_b32 s3, v18
	v_or_b32_e32 v18, 1, v33
	v_add_nc_u32_e32 v33, 16, v33
	s_mul_f32 s3, s3, 0x4f7ffffe
	s_wait_alu 0xfffe
	s_cvt_u32_f32 s3, s3
	s_wait_alu 0xfffe
	s_delay_alu instid0(SALU_CYCLE_2) | instskip(NEXT) | instid1(SALU_CYCLE_1)
	s_mul_i32 s4, s4, s3
	s_mul_hi_u32 s4, s3, s4
	s_delay_alu instid0(SALU_CYCLE_1)
	s_add_co_i32 s3, s3, s4
	s_lshl_b64 s[4:5], s[10:11], 2
	s_wait_alu 0xfffe
	s_lshr_b32 s10, s3, 20
	s_add_nc_u64 s[4:5], s[6:7], s[4:5]
	s_mul_i32 s6, s10, s2
	s_load_b32 s3, s[4:5], 0x0
	s_sub_co_i32 s4, 0x1000, s6
	s_add_co_i32 s5, s10, 1
	s_sub_co_i32 s6, s4, s2
	s_cmp_ge_u32 s4, s2
	s_cselect_b32 s5, s5, s10
	s_cselect_b32 s4, s6, s4
	s_add_co_i32 s6, s5, 1
	s_cmp_ge_u32 s4, s2
	s_cselect_b32 s4, s6, s5
	s_delay_alu instid0(SALU_CYCLE_1)
	s_add_co_i32 s4, s4, 1
	s_branch .LBB190_2
.LBB190_1:                              ;   in Loop: Header=BB190_2 Depth=1
	s_or_b32 exec_lo, exec_lo, s5
	v_dual_sub_f32 v35, v16, v15 :: v_dual_sub_f32 v36, v15, v14
	v_cmp_gt_u32_e32 vcc_lo, s3, v18
	v_dual_sub_f32 v39, v12, v11 :: v_dual_sub_f32 v40, v11, v10
	v_dual_sub_f32 v38, v13, v12 :: v_dual_sub_f32 v41, v10, v9
	s_wait_alu 0xfffd
	v_dual_sub_f32 v42, v9, v8 :: v_dual_cndmask_b32 v35, v16, v35
	v_cmp_gt_u32_e32 vcc_lo, s3, v19
	v_sub_f32_e32 v37, v14, v13
	v_dual_sub_f32 v43, v8, v7 :: v_dual_sub_f32 v44, v7, v6
	v_dual_sub_f32 v45, v6, v5 :: v_dual_sub_f32 v46, v5, v4
	s_wait_alu 0xfffd
	v_cndmask_b32_e32 v36, v15, v36, vcc_lo
	v_cmp_gt_u32_e32 vcc_lo, s3, v20
	v_dual_sub_f32 v47, v4, v3 :: v_dual_sub_f32 v48, v3, v2
	s_add_co_i32 s2, s2, -1
	s_wait_loadcnt 0x0
	s_wait_alu 0xfffd
	v_cndmask_b32_e32 v37, v14, v37, vcc_lo
	v_cmp_gt_u32_e32 vcc_lo, s3, v21
	s_barrier_signal -1
	s_barrier_wait -1
	global_inv scope:SCOPE_SE
	v_add_f32_e32 v16, v16, v35
	s_wait_alu 0xfffd
	v_cndmask_b32_e32 v38, v13, v38, vcc_lo
	v_cmp_gt_u32_e32 vcc_lo, s3, v22
	s_wait_alu 0xfffd
	v_dual_add_f32 v14, v14, v37 :: v_dual_cndmask_b32 v39, v12, v39
	v_cmp_gt_u32_e32 vcc_lo, s3, v23
	s_wait_alu 0xfffd
	v_cndmask_b32_e32 v40, v11, v40, vcc_lo
	v_cmp_gt_u32_e32 vcc_lo, s3, v24
	v_dual_add_f32 v15, v15, v36 :: v_dual_add_f32 v12, v12, v39
	s_wait_alu 0xfffd
	v_cndmask_b32_e32 v41, v10, v41, vcc_lo
	v_cmp_gt_u32_e32 vcc_lo, s3, v25
	s_wait_alu 0xfffd
	v_cndmask_b32_e32 v42, v9, v42, vcc_lo
	v_cmp_gt_u32_e32 vcc_lo, s3, v26
	v_dual_add_f32 v13, v13, v38 :: v_dual_add_f32 v10, v10, v41
	s_wait_alu 0xfffd
	v_cndmask_b32_e32 v43, v8, v43, vcc_lo
	;; [unrolled: 7-line block ×4, first 2 shown]
	v_cmp_gt_u32_e32 vcc_lo, s3, v31
	v_sub_f32_e32 v49, v2, v1
	v_add_f32_e32 v7, v7, v44
	s_delay_alu instid0(VALU_DEP_4)
	v_dual_add_f32 v1, v1, v34 :: v_dual_add_f32 v4, v4, v47
	s_wait_alu 0xfffd
	v_cndmask_b32_e32 v48, v3, v48, vcc_lo
	v_cmp_gt_u32_e32 vcc_lo, s3, v32
	s_add_co_i32 s3, s4, s3
	s_wait_alu 0xfffe
	s_and_b32 s3, s3, 0xfff
	v_add_f32_e32 v3, v3, v48
	s_wait_alu 0xfffd
	v_cndmask_b32_e32 v49, v2, v49, vcc_lo
	v_add_f32_e32 v5, v5, v46
	s_cmp_lg_u32 s2, 0
	s_delay_alu instid0(VALU_DEP_2)
	v_add_f32_e32 v2, v2, v49
	s_cbranch_scc0 .LBB190_4
.LBB190_2:                              ; =>This Inner Loop Header: Depth=1
	s_wait_loadcnt 0x0
	v_mov_b32_e32 v34, v1
	s_mov_b32 s5, exec_lo
	ds_store_b32 v17, v16 offset:1024
	s_wait_dscnt 0x0
	s_barrier_signal -1
	s_barrier_wait -1
	global_inv scope:SCOPE_SE
	s_wait_kmcnt 0x0
	s_wait_alu 0xfffe
	v_cmpx_gt_u32_e64 s3, v33
	s_cbranch_execz .LBB190_1
; %bb.3:                                ;   in Loop: Header=BB190_2 Depth=1
	ds_load_b32 v34, v17 offset:1028
	s_wait_dscnt 0x0
	v_sub_f32_e32 v34, v1, v34
	s_branch .LBB190_1
.LBB190_4:
	v_lshlrev_b32_e32 v0, 2, v0
	s_add_nc_u64 s[0:1], s[0:1], s[8:9]
	s_clause 0xf
	global_store_b32 v0, v16, s[0:1]
	global_store_b32 v0, v15, s[0:1] offset:1024
	global_store_b32 v0, v14, s[0:1] offset:2048
	;; [unrolled: 1-line block ×15, first 2 shown]
	s_endpgm
	.section	.rodata,"a",@progbits
	.p2align	6, 0x0
	.amdhsa_kernel _Z6kernelI27subtract_right_partial_tileLj256ELj16ELb0EJPfPiS1_jEEvDpT3_
		.amdhsa_group_segment_fixed_size 2048
		.amdhsa_private_segment_fixed_size 0
		.amdhsa_kernarg_size 28
		.amdhsa_user_sgpr_count 2
		.amdhsa_user_sgpr_dispatch_ptr 0
		.amdhsa_user_sgpr_queue_ptr 0
		.amdhsa_user_sgpr_kernarg_segment_ptr 1
		.amdhsa_user_sgpr_dispatch_id 0
		.amdhsa_user_sgpr_private_segment_size 0
		.amdhsa_wavefront_size32 1
		.amdhsa_uses_dynamic_stack 0
		.amdhsa_enable_private_segment 0
		.amdhsa_system_sgpr_workgroup_id_x 1
		.amdhsa_system_sgpr_workgroup_id_y 0
		.amdhsa_system_sgpr_workgroup_id_z 0
		.amdhsa_system_sgpr_workgroup_info 0
		.amdhsa_system_vgpr_workitem_id 0
		.amdhsa_next_free_vgpr 50
		.amdhsa_next_free_sgpr 12
		.amdhsa_reserve_vcc 1
		.amdhsa_float_round_mode_32 0
		.amdhsa_float_round_mode_16_64 0
		.amdhsa_float_denorm_mode_32 3
		.amdhsa_float_denorm_mode_16_64 3
		.amdhsa_fp16_overflow 0
		.amdhsa_workgroup_processor_mode 1
		.amdhsa_memory_ordered 1
		.amdhsa_forward_progress 1
		.amdhsa_inst_pref_size 9
		.amdhsa_round_robin_scheduling 0
		.amdhsa_exception_fp_ieee_invalid_op 0
		.amdhsa_exception_fp_denorm_src 0
		.amdhsa_exception_fp_ieee_div_zero 0
		.amdhsa_exception_fp_ieee_overflow 0
		.amdhsa_exception_fp_ieee_underflow 0
		.amdhsa_exception_fp_ieee_inexact 0
		.amdhsa_exception_int_div_zero 0
	.end_amdhsa_kernel
	.section	.text._Z6kernelI27subtract_right_partial_tileLj256ELj16ELb0EJPfPiS1_jEEvDpT3_,"axG",@progbits,_Z6kernelI27subtract_right_partial_tileLj256ELj16ELb0EJPfPiS1_jEEvDpT3_,comdat
.Lfunc_end190:
	.size	_Z6kernelI27subtract_right_partial_tileLj256ELj16ELb0EJPfPiS1_jEEvDpT3_, .Lfunc_end190-_Z6kernelI27subtract_right_partial_tileLj256ELj16ELb0EJPfPiS1_jEEvDpT3_
                                        ; -- End function
	.set _Z6kernelI27subtract_right_partial_tileLj256ELj16ELb0EJPfPiS1_jEEvDpT3_.num_vgpr, 50
	.set _Z6kernelI27subtract_right_partial_tileLj256ELj16ELb0EJPfPiS1_jEEvDpT3_.num_agpr, 0
	.set _Z6kernelI27subtract_right_partial_tileLj256ELj16ELb0EJPfPiS1_jEEvDpT3_.numbered_sgpr, 12
	.set _Z6kernelI27subtract_right_partial_tileLj256ELj16ELb0EJPfPiS1_jEEvDpT3_.num_named_barrier, 0
	.set _Z6kernelI27subtract_right_partial_tileLj256ELj16ELb0EJPfPiS1_jEEvDpT3_.private_seg_size, 0
	.set _Z6kernelI27subtract_right_partial_tileLj256ELj16ELb0EJPfPiS1_jEEvDpT3_.uses_vcc, 1
	.set _Z6kernelI27subtract_right_partial_tileLj256ELj16ELb0EJPfPiS1_jEEvDpT3_.uses_flat_scratch, 0
	.set _Z6kernelI27subtract_right_partial_tileLj256ELj16ELb0EJPfPiS1_jEEvDpT3_.has_dyn_sized_stack, 0
	.set _Z6kernelI27subtract_right_partial_tileLj256ELj16ELb0EJPfPiS1_jEEvDpT3_.has_recursion, 0
	.set _Z6kernelI27subtract_right_partial_tileLj256ELj16ELb0EJPfPiS1_jEEvDpT3_.has_indirect_call, 0
	.section	.AMDGPU.csdata,"",@progbits
; Kernel info:
; codeLenInByte = 1112
; TotalNumSgprs: 14
; NumVgprs: 50
; ScratchSize: 0
; MemoryBound: 0
; FloatMode: 240
; IeeeMode: 1
; LDSByteSize: 2048 bytes/workgroup (compile time only)
; SGPRBlocks: 0
; VGPRBlocks: 6
; NumSGPRsForWavesPerEU: 14
; NumVGPRsForWavesPerEU: 50
; Occupancy: 16
; WaveLimiterHint : 1
; COMPUTE_PGM_RSRC2:SCRATCH_EN: 0
; COMPUTE_PGM_RSRC2:USER_SGPR: 2
; COMPUTE_PGM_RSRC2:TRAP_HANDLER: 0
; COMPUTE_PGM_RSRC2:TGID_X_EN: 1
; COMPUTE_PGM_RSRC2:TGID_Y_EN: 0
; COMPUTE_PGM_RSRC2:TGID_Z_EN: 0
; COMPUTE_PGM_RSRC2:TIDIG_COMP_CNT: 0
	.section	.text._Z6kernelI27subtract_right_partial_tileLj256ELj32ELb0EJPfPiS1_jEEvDpT3_,"axG",@progbits,_Z6kernelI27subtract_right_partial_tileLj256ELj32ELb0EJPfPiS1_jEEvDpT3_,comdat
	.protected	_Z6kernelI27subtract_right_partial_tileLj256ELj32ELb0EJPfPiS1_jEEvDpT3_ ; -- Begin function _Z6kernelI27subtract_right_partial_tileLj256ELj32ELb0EJPfPiS1_jEEvDpT3_
	.globl	_Z6kernelI27subtract_right_partial_tileLj256ELj32ELb0EJPfPiS1_jEEvDpT3_
	.p2align	8
	.type	_Z6kernelI27subtract_right_partial_tileLj256ELj32ELb0EJPfPiS1_jEEvDpT3_,@function
_Z6kernelI27subtract_right_partial_tileLj256ELj32ELb0EJPfPiS1_jEEvDpT3_: ; @_Z6kernelI27subtract_right_partial_tileLj256ELj32ELb0EJPfPiS1_jEEvDpT3_
; %bb.0:
	s_load_b128 s[4:7], s[0:1], 0x0
	s_lshl_b32 s10, ttmp9, 13
	s_mov_b32 s11, 0
	v_lshlrev_b32_e32 v33, 2, v0
	s_lshl_b64 s[8:9], s[10:11], 2
	s_load_b96 s[0:2], s[0:1], 0x10
	s_mov_b32 s10, ttmp9
	v_lshlrev_b32_e32 v65, 5, v0
	s_delay_alu instid0(VALU_DEP_1)
	v_or_b32_e32 v35, 2, v65
	v_or_b32_e32 v36, 3, v65
	;; [unrolled: 1-line block ×8, first 2 shown]
	s_wait_kmcnt 0x0
	s_add_nc_u64 s[4:5], s[4:5], s[8:9]
	v_or_b32_e32 v43, 10, v65
	s_clause 0x1f
	global_load_b32 v32, v33, s[4:5]
	global_load_b32 v31, v33, s[4:5] offset:1024
	global_load_b32 v30, v33, s[4:5] offset:2048
	global_load_b32 v29, v33, s[4:5] offset:3072
	global_load_b32 v28, v33, s[4:5] offset:4096
	global_load_b32 v27, v33, s[4:5] offset:5120
	global_load_b32 v26, v33, s[4:5] offset:6144
	global_load_b32 v25, v33, s[4:5] offset:7168
	global_load_b32 v24, v33, s[4:5] offset:8192
	global_load_b32 v23, v33, s[4:5] offset:9216
	global_load_b32 v22, v33, s[4:5] offset:10240
	global_load_b32 v21, v33, s[4:5] offset:11264
	global_load_b32 v20, v33, s[4:5] offset:12288
	global_load_b32 v19, v33, s[4:5] offset:13312
	global_load_b32 v18, v33, s[4:5] offset:14336
	global_load_b32 v17, v33, s[4:5] offset:15360
	global_load_b32 v16, v33, s[4:5] offset:16384
	global_load_b32 v15, v33, s[4:5] offset:17408
	global_load_b32 v14, v33, s[4:5] offset:18432
	global_load_b32 v13, v33, s[4:5] offset:19456
	global_load_b32 v12, v33, s[4:5] offset:20480
	global_load_b32 v11, v33, s[4:5] offset:21504
	global_load_b32 v10, v33, s[4:5] offset:22528
	global_load_b32 v9, v33, s[4:5] offset:23552
	global_load_b32 v8, v33, s[4:5] offset:24576
	global_load_b32 v7, v33, s[4:5] offset:25600
	global_load_b32 v6, v33, s[4:5] offset:26624
	global_load_b32 v5, v33, s[4:5] offset:27648
	global_load_b32 v4, v33, s[4:5] offset:28672
	global_load_b32 v3, v33, s[4:5] offset:29696
	global_load_b32 v2, v33, s[4:5] offset:30720
	global_load_b32 v1, v33, s[4:5] offset:31744
	v_or_b32_e32 v44, 11, v65
	v_or_b32_e32 v45, 12, v65
	s_cvt_f32_u32 s3, s2
	s_sub_co_i32 s4, 0, s2
	v_or_b32_e32 v46, 13, v65
	v_or_b32_e32 v47, 14, v65
	v_rcp_iflag_f32_e32 v34, s3
	v_or_b32_e32 v48, 15, v65
	v_or_b32_e32 v49, 16, v65
	;; [unrolled: 1-line block ×9, first 2 shown]
	v_readfirstlane_b32 s3, v34
	v_or_b32_e32 v34, 1, v65
	v_or_b32_e32 v57, 24, v65
	;; [unrolled: 1-line block ×4, first 2 shown]
	s_mul_f32 s3, s3, 0x4f7ffffe
	v_or_b32_e32 v60, 27, v65
	v_or_b32_e32 v61, 28, v65
	;; [unrolled: 1-line block ×3, first 2 shown]
	s_wait_alu 0xfffe
	s_cvt_u32_f32 s3, s3
	v_or_b32_e32 v63, 30, v65
	v_or_b32_e32 v64, 31, v65
	v_add_nc_u32_e32 v65, 32, v65
	s_wait_alu 0xfffe
	s_mul_i32 s4, s4, s3
	s_delay_alu instid0(SALU_CYCLE_1) | instskip(NEXT) | instid1(SALU_CYCLE_1)
	s_mul_hi_u32 s4, s3, s4
	s_add_co_i32 s3, s3, s4
	s_lshl_b64 s[4:5], s[10:11], 2
	s_wait_alu 0xfffe
	s_lshr_b32 s10, s3, 19
	s_add_nc_u64 s[4:5], s[6:7], s[4:5]
	s_mul_i32 s6, s10, s2
	s_load_b32 s3, s[4:5], 0x0
	s_sub_co_i32 s4, 0x2000, s6
	s_add_co_i32 s5, s10, 1
	s_sub_co_i32 s6, s4, s2
	s_cmp_ge_u32 s4, s2
	s_cselect_b32 s5, s5, s10
	s_cselect_b32 s4, s6, s4
	s_add_co_i32 s6, s5, 1
	s_cmp_ge_u32 s4, s2
	s_cselect_b32 s4, s6, s5
	s_delay_alu instid0(SALU_CYCLE_1)
	s_add_co_i32 s4, s4, 1
	s_branch .LBB191_2
.LBB191_1:                              ;   in Loop: Header=BB191_2 Depth=1
	s_or_b32 exec_lo, exec_lo, s5
	v_dual_sub_f32 v67, v32, v31 :: v_dual_sub_f32 v68, v31, v30
	v_cmp_gt_u32_e32 vcc_lo, s3, v34
	v_dual_sub_f32 v71, v28, v27 :: v_dual_sub_f32 v72, v27, v26
	v_dual_sub_f32 v70, v29, v28 :: v_dual_sub_f32 v73, v26, v25
	s_wait_alu 0xfffd
	v_dual_sub_f32 v74, v25, v24 :: v_dual_cndmask_b32 v67, v32, v67
	v_cmp_gt_u32_e32 vcc_lo, s3, v35
	v_sub_f32_e32 v69, v30, v29
	v_dual_sub_f32 v75, v24, v23 :: v_dual_sub_f32 v76, v23, v22
	v_dual_sub_f32 v77, v22, v21 :: v_dual_sub_f32 v78, v21, v20
	s_wait_alu 0xfffd
	v_cndmask_b32_e32 v68, v31, v68, vcc_lo
	v_cmp_gt_u32_e32 vcc_lo, s3, v36
	v_dual_sub_f32 v79, v20, v19 :: v_dual_sub_f32 v80, v19, v18
	v_dual_sub_f32 v81, v18, v17 :: v_dual_sub_f32 v82, v17, v16
	s_wait_alu 0xfffd
	v_cndmask_b32_e32 v69, v30, v69, vcc_lo
	v_cmp_gt_u32_e32 vcc_lo, s3, v37
	;; [unrolled: 5-line block ×4, first 2 shown]
	v_dual_sub_f32 v91, v8, v7 :: v_dual_sub_f32 v92, v7, v6
	v_dual_add_f32 v32, v32, v67 :: v_dual_add_f32 v31, v31, v68
	s_wait_alu 0xfffd
	v_cndmask_b32_e32 v72, v27, v72, vcc_lo
	v_cmp_gt_u32_e32 vcc_lo, s3, v40
	v_dual_sub_f32 v67, v4, v3 :: v_dual_sub_f32 v68, v3, v2
	s_add_co_i32 s2, s2, -1
	s_wait_loadcnt 0x0
	s_wait_alu 0xfffd
	v_cndmask_b32_e32 v73, v26, v73, vcc_lo
	v_cmp_gt_u32_e32 vcc_lo, s3, v41
	s_barrier_signal -1
	s_barrier_wait -1
	global_inv scope:SCOPE_SE
	v_sub_f32_e32 v94, v5, v4
	s_wait_alu 0xfffd
	v_cndmask_b32_e32 v74, v25, v74, vcc_lo
	v_cmp_gt_u32_e32 vcc_lo, s3, v42
	v_dual_add_f32 v29, v29, v70 :: v_dual_add_f32 v26, v26, v73
	v_add_f32_e32 v28, v28, v71
	s_wait_alu 0xfffd
	v_cndmask_b32_e32 v75, v24, v75, vcc_lo
	v_cmp_gt_u32_e32 vcc_lo, s3, v43
	s_wait_alu 0xfffd
	v_cndmask_b32_e32 v76, v23, v76, vcc_lo
	v_cmp_gt_u32_e32 vcc_lo, s3, v44
	v_dual_add_f32 v27, v27, v72 :: v_dual_add_f32 v24, v24, v75
	s_wait_alu 0xfffd
	v_cndmask_b32_e32 v77, v22, v77, vcc_lo
	v_cmp_gt_u32_e32 vcc_lo, s3, v45
	s_wait_alu 0xfffd
	v_cndmask_b32_e32 v78, v21, v78, vcc_lo
	v_cmp_gt_u32_e32 vcc_lo, s3, v46
	v_dual_add_f32 v25, v25, v74 :: v_dual_add_f32 v22, v22, v77
	;; [unrolled: 7-line block ×8, first 2 shown]
	s_wait_alu 0xfffd
	v_cndmask_b32_e32 v91, v8, v91, vcc_lo
	v_cmp_gt_u32_e32 vcc_lo, s3, v59
	v_sub_f32_e32 v93, v6, v5
	s_delay_alu instid0(VALU_DEP_3)
	v_dual_add_f32 v11, v11, v88 :: v_dual_add_f32 v8, v8, v91
	s_wait_alu 0xfffd
	v_cndmask_b32_e32 v92, v7, v92, vcc_lo
	v_cmp_gt_u32_e32 vcc_lo, s3, v60
	s_wait_alu 0xfffd
	v_cndmask_b32_e32 v93, v6, v93, vcc_lo
	v_cmp_gt_u32_e32 vcc_lo, s3, v61
	;; [unrolled: 3-line block ×3, first 2 shown]
	v_dual_add_f32 v30, v30, v69 :: v_dual_add_f32 v9, v9, v90
	s_wait_alu 0xfffd
	v_dual_add_f32 v6, v6, v93 :: v_dual_cndmask_b32 v67, v4, v67
	v_cmp_gt_u32_e32 vcc_lo, s3, v63
	v_sub_f32_e32 v69, v2, v1
	v_add_f32_e32 v7, v7, v92
	s_delay_alu instid0(VALU_DEP_4)
	v_dual_add_f32 v1, v1, v66 :: v_dual_add_f32 v4, v4, v67
	s_wait_alu 0xfffd
	v_cndmask_b32_e32 v68, v3, v68, vcc_lo
	v_cmp_gt_u32_e32 vcc_lo, s3, v64
	s_add_co_i32 s3, s4, s3
	s_wait_alu 0xfffe
	s_and_b32 s3, s3, 0x1fff
	v_add_f32_e32 v3, v3, v68
	s_wait_alu 0xfffd
	v_cndmask_b32_e32 v69, v2, v69, vcc_lo
	v_add_f32_e32 v5, v5, v94
	s_cmp_lg_u32 s2, 0
	s_delay_alu instid0(VALU_DEP_2)
	v_add_f32_e32 v2, v2, v69
	s_cbranch_scc0 .LBB191_4
.LBB191_2:                              ; =>This Inner Loop Header: Depth=1
	s_wait_loadcnt 0x0
	v_mov_b32_e32 v66, v1
	s_mov_b32 s5, exec_lo
	ds_store_b32 v33, v32 offset:1024
	s_wait_dscnt 0x0
	s_barrier_signal -1
	s_barrier_wait -1
	global_inv scope:SCOPE_SE
	s_wait_kmcnt 0x0
	s_wait_alu 0xfffe
	v_cmpx_gt_u32_e64 s3, v65
	s_cbranch_execz .LBB191_1
; %bb.3:                                ;   in Loop: Header=BB191_2 Depth=1
	ds_load_b32 v66, v33 offset:1028
	s_wait_dscnt 0x0
	v_sub_f32_e32 v66, v1, v66
	s_branch .LBB191_1
.LBB191_4:
	v_lshlrev_b32_e32 v0, 2, v0
	s_add_nc_u64 s[0:1], s[0:1], s[8:9]
	s_clause 0x1f
	global_store_b32 v0, v32, s[0:1]
	global_store_b32 v0, v31, s[0:1] offset:1024
	global_store_b32 v0, v30, s[0:1] offset:2048
	;; [unrolled: 1-line block ×31, first 2 shown]
	s_endpgm
	.section	.rodata,"a",@progbits
	.p2align	6, 0x0
	.amdhsa_kernel _Z6kernelI27subtract_right_partial_tileLj256ELj32ELb0EJPfPiS1_jEEvDpT3_
		.amdhsa_group_segment_fixed_size 2048
		.amdhsa_private_segment_fixed_size 0
		.amdhsa_kernarg_size 28
		.amdhsa_user_sgpr_count 2
		.amdhsa_user_sgpr_dispatch_ptr 0
		.amdhsa_user_sgpr_queue_ptr 0
		.amdhsa_user_sgpr_kernarg_segment_ptr 1
		.amdhsa_user_sgpr_dispatch_id 0
		.amdhsa_user_sgpr_private_segment_size 0
		.amdhsa_wavefront_size32 1
		.amdhsa_uses_dynamic_stack 0
		.amdhsa_enable_private_segment 0
		.amdhsa_system_sgpr_workgroup_id_x 1
		.amdhsa_system_sgpr_workgroup_id_y 0
		.amdhsa_system_sgpr_workgroup_id_z 0
		.amdhsa_system_sgpr_workgroup_info 0
		.amdhsa_system_vgpr_workitem_id 0
		.amdhsa_next_free_vgpr 95
		.amdhsa_next_free_sgpr 12
		.amdhsa_reserve_vcc 1
		.amdhsa_float_round_mode_32 0
		.amdhsa_float_round_mode_16_64 0
		.amdhsa_float_denorm_mode_32 3
		.amdhsa_float_denorm_mode_16_64 3
		.amdhsa_fp16_overflow 0
		.amdhsa_workgroup_processor_mode 1
		.amdhsa_memory_ordered 1
		.amdhsa_forward_progress 1
		.amdhsa_inst_pref_size 15
		.amdhsa_round_robin_scheduling 0
		.amdhsa_exception_fp_ieee_invalid_op 0
		.amdhsa_exception_fp_denorm_src 0
		.amdhsa_exception_fp_ieee_div_zero 0
		.amdhsa_exception_fp_ieee_overflow 0
		.amdhsa_exception_fp_ieee_underflow 0
		.amdhsa_exception_fp_ieee_inexact 0
		.amdhsa_exception_int_div_zero 0
	.end_amdhsa_kernel
	.section	.text._Z6kernelI27subtract_right_partial_tileLj256ELj32ELb0EJPfPiS1_jEEvDpT3_,"axG",@progbits,_Z6kernelI27subtract_right_partial_tileLj256ELj32ELb0EJPfPiS1_jEEvDpT3_,comdat
.Lfunc_end191:
	.size	_Z6kernelI27subtract_right_partial_tileLj256ELj32ELb0EJPfPiS1_jEEvDpT3_, .Lfunc_end191-_Z6kernelI27subtract_right_partial_tileLj256ELj32ELb0EJPfPiS1_jEEvDpT3_
                                        ; -- End function
	.set _Z6kernelI27subtract_right_partial_tileLj256ELj32ELb0EJPfPiS1_jEEvDpT3_.num_vgpr, 95
	.set _Z6kernelI27subtract_right_partial_tileLj256ELj32ELb0EJPfPiS1_jEEvDpT3_.num_agpr, 0
	.set _Z6kernelI27subtract_right_partial_tileLj256ELj32ELb0EJPfPiS1_jEEvDpT3_.numbered_sgpr, 12
	.set _Z6kernelI27subtract_right_partial_tileLj256ELj32ELb0EJPfPiS1_jEEvDpT3_.num_named_barrier, 0
	.set _Z6kernelI27subtract_right_partial_tileLj256ELj32ELb0EJPfPiS1_jEEvDpT3_.private_seg_size, 0
	.set _Z6kernelI27subtract_right_partial_tileLj256ELj32ELb0EJPfPiS1_jEEvDpT3_.uses_vcc, 1
	.set _Z6kernelI27subtract_right_partial_tileLj256ELj32ELb0EJPfPiS1_jEEvDpT3_.uses_flat_scratch, 0
	.set _Z6kernelI27subtract_right_partial_tileLj256ELj32ELb0EJPfPiS1_jEEvDpT3_.has_dyn_sized_stack, 0
	.set _Z6kernelI27subtract_right_partial_tileLj256ELj32ELb0EJPfPiS1_jEEvDpT3_.has_recursion, 0
	.set _Z6kernelI27subtract_right_partial_tileLj256ELj32ELb0EJPfPiS1_jEEvDpT3_.has_indirect_call, 0
	.section	.AMDGPU.csdata,"",@progbits
; Kernel info:
; codeLenInByte = 1876
; TotalNumSgprs: 14
; NumVgprs: 95
; ScratchSize: 0
; MemoryBound: 0
; FloatMode: 240
; IeeeMode: 1
; LDSByteSize: 2048 bytes/workgroup (compile time only)
; SGPRBlocks: 0
; VGPRBlocks: 11
; NumSGPRsForWavesPerEU: 14
; NumVGPRsForWavesPerEU: 95
; Occupancy: 16
; WaveLimiterHint : 1
; COMPUTE_PGM_RSRC2:SCRATCH_EN: 0
; COMPUTE_PGM_RSRC2:USER_SGPR: 2
; COMPUTE_PGM_RSRC2:TRAP_HANDLER: 0
; COMPUTE_PGM_RSRC2:TGID_X_EN: 1
; COMPUTE_PGM_RSRC2:TGID_Y_EN: 0
; COMPUTE_PGM_RSRC2:TGID_Z_EN: 0
; COMPUTE_PGM_RSRC2:TIDIG_COMP_CNT: 0
	.section	.text._Z6kernelI27subtract_right_partial_tileLj256ELj1ELb0EJPaPiS1_jEEvDpT3_,"axG",@progbits,_Z6kernelI27subtract_right_partial_tileLj256ELj1ELb0EJPaPiS1_jEEvDpT3_,comdat
	.protected	_Z6kernelI27subtract_right_partial_tileLj256ELj1ELb0EJPaPiS1_jEEvDpT3_ ; -- Begin function _Z6kernelI27subtract_right_partial_tileLj256ELj1ELb0EJPaPiS1_jEEvDpT3_
	.globl	_Z6kernelI27subtract_right_partial_tileLj256ELj1ELb0EJPaPiS1_jEEvDpT3_
	.p2align	8
	.type	_Z6kernelI27subtract_right_partial_tileLj256ELj1ELb0EJPaPiS1_jEEvDpT3_,@function
_Z6kernelI27subtract_right_partial_tileLj256ELj1ELb0EJPaPiS1_jEEvDpT3_: ; @_Z6kernelI27subtract_right_partial_tileLj256ELj1ELb0EJPaPiS1_jEEvDpT3_
; %bb.0:
	s_load_b128 s[8:11], s[0:1], 0x0
	s_lshl_b32 s4, ttmp9, 8
	s_mov_b32 s5, 0
	s_load_b96 s[0:2], s[0:1], 0x10
	s_mov_b32 s6, ttmp9
	s_mov_b32 s7, s5
	s_delay_alu instid0(SALU_CYCLE_1)
	s_lshl_b64 s[6:7], s[6:7], 2
	s_wait_kmcnt 0x0
	s_add_nc_u64 s[8:9], s[8:9], s[4:5]
	s_add_nc_u64 s[6:7], s[10:11], s[6:7]
	global_load_u8 v1, v0, s[8:9]
	s_cvt_f32_u32 s3, s2
	s_delay_alu instid0(SALU_CYCLE_3) | instskip(NEXT) | instid1(TRANS32_DEP_1)
	v_rcp_iflag_f32_e32 v2, s3
	v_readfirstlane_b32 s3, v2
	v_add_nc_u32_e32 v2, 1, v0
	s_mul_f32 s3, s3, 0x4f7ffffe
	s_wait_alu 0xfffe
	s_delay_alu instid0(SALU_CYCLE_2) | instskip(SKIP_2) | instid1(SALU_CYCLE_1)
	s_cvt_u32_f32 s8, s3
	s_sub_co_i32 s3, 0, s2
	s_wait_alu 0xfffe
	s_mul_i32 s3, s3, s8
	s_wait_alu 0xfffe
	s_mul_hi_u32 s9, s8, s3
	s_load_b32 s3, s[6:7], 0x0
	s_add_co_i32 s8, s8, s9
	s_delay_alu instid0(SALU_CYCLE_1) | instskip(NEXT) | instid1(SALU_CYCLE_1)
	s_lshr_b32 s6, s8, 24
	s_mul_i32 s7, s6, s2
	s_add_co_i32 s8, s6, 1
	s_sub_co_i32 s7, 0x100, s7
	s_delay_alu instid0(SALU_CYCLE_1)
	s_sub_co_i32 s9, s7, s2
	s_cmp_ge_u32 s7, s2
	s_cselect_b32 s6, s8, s6
	s_cselect_b32 s7, s9, s7
	s_add_co_i32 s8, s6, 1
	s_cmp_ge_u32 s7, s2
	s_cselect_b32 s6, s8, s6
	s_delay_alu instid0(SALU_CYCLE_1)
	s_add_co_i32 s6, s6, 1
	s_branch .LBB192_2
.LBB192_1:                              ;   in Loop: Header=BB192_2 Depth=1
	s_or_b32 exec_lo, exec_lo, s7
	s_add_co_i32 s3, s6, s3
	s_delay_alu instid0(VALU_DEP_1)
	v_add_nc_u16 v1, v3, v1
	s_add_co_i32 s2, s2, -1
	s_wait_alu 0xfffe
	s_and_b32 s3, s3, 0xff
	s_cmp_lg_u32 s2, 0
	s_wait_loadcnt 0x0
	s_barrier_signal -1
	s_barrier_wait -1
	global_inv scope:SCOPE_SE
	s_cbranch_scc0 .LBB192_4
.LBB192_2:                              ; =>This Inner Loop Header: Depth=1
	s_wait_loadcnt 0x0
	v_mov_b32_e32 v3, v1
	s_mov_b32 s7, exec_lo
	ds_store_b8 v0, v1 offset:256
	s_wait_dscnt 0x0
	s_barrier_signal -1
	s_barrier_wait -1
	global_inv scope:SCOPE_SE
	s_wait_kmcnt 0x0
	s_wait_alu 0xfffe
	v_cmpx_gt_u32_e64 s3, v2
	s_cbranch_execz .LBB192_1
; %bb.3:                                ;   in Loop: Header=BB192_2 Depth=1
	ds_load_u8 v3, v0 offset:257
	s_wait_dscnt 0x0
	v_sub_nc_u16 v3, v1, v3
	s_branch .LBB192_1
.LBB192_4:
	s_add_nc_u64 s[0:1], s[0:1], s[4:5]
	s_delay_alu instid0(SALU_CYCLE_1)
	v_add_co_u32 v2, s0, s0, v0
	s_wait_alu 0xf1ff
	v_add_co_ci_u32_e64 v3, null, s1, 0, s0
	global_store_b8 v[2:3], v1, off
	s_endpgm
	.section	.rodata,"a",@progbits
	.p2align	6, 0x0
	.amdhsa_kernel _Z6kernelI27subtract_right_partial_tileLj256ELj1ELb0EJPaPiS1_jEEvDpT3_
		.amdhsa_group_segment_fixed_size 512
		.amdhsa_private_segment_fixed_size 0
		.amdhsa_kernarg_size 28
		.amdhsa_user_sgpr_count 2
		.amdhsa_user_sgpr_dispatch_ptr 0
		.amdhsa_user_sgpr_queue_ptr 0
		.amdhsa_user_sgpr_kernarg_segment_ptr 1
		.amdhsa_user_sgpr_dispatch_id 0
		.amdhsa_user_sgpr_private_segment_size 0
		.amdhsa_wavefront_size32 1
		.amdhsa_uses_dynamic_stack 0
		.amdhsa_enable_private_segment 0
		.amdhsa_system_sgpr_workgroup_id_x 1
		.amdhsa_system_sgpr_workgroup_id_y 0
		.amdhsa_system_sgpr_workgroup_id_z 0
		.amdhsa_system_sgpr_workgroup_info 0
		.amdhsa_system_vgpr_workitem_id 0
		.amdhsa_next_free_vgpr 4
		.amdhsa_next_free_sgpr 12
		.amdhsa_reserve_vcc 0
		.amdhsa_float_round_mode_32 0
		.amdhsa_float_round_mode_16_64 0
		.amdhsa_float_denorm_mode_32 3
		.amdhsa_float_denorm_mode_16_64 3
		.amdhsa_fp16_overflow 0
		.amdhsa_workgroup_processor_mode 1
		.amdhsa_memory_ordered 1
		.amdhsa_forward_progress 1
		.amdhsa_inst_pref_size 4
		.amdhsa_round_robin_scheduling 0
		.amdhsa_exception_fp_ieee_invalid_op 0
		.amdhsa_exception_fp_denorm_src 0
		.amdhsa_exception_fp_ieee_div_zero 0
		.amdhsa_exception_fp_ieee_overflow 0
		.amdhsa_exception_fp_ieee_underflow 0
		.amdhsa_exception_fp_ieee_inexact 0
		.amdhsa_exception_int_div_zero 0
	.end_amdhsa_kernel
	.section	.text._Z6kernelI27subtract_right_partial_tileLj256ELj1ELb0EJPaPiS1_jEEvDpT3_,"axG",@progbits,_Z6kernelI27subtract_right_partial_tileLj256ELj1ELb0EJPaPiS1_jEEvDpT3_,comdat
.Lfunc_end192:
	.size	_Z6kernelI27subtract_right_partial_tileLj256ELj1ELb0EJPaPiS1_jEEvDpT3_, .Lfunc_end192-_Z6kernelI27subtract_right_partial_tileLj256ELj1ELb0EJPaPiS1_jEEvDpT3_
                                        ; -- End function
	.set _Z6kernelI27subtract_right_partial_tileLj256ELj1ELb0EJPaPiS1_jEEvDpT3_.num_vgpr, 4
	.set _Z6kernelI27subtract_right_partial_tileLj256ELj1ELb0EJPaPiS1_jEEvDpT3_.num_agpr, 0
	.set _Z6kernelI27subtract_right_partial_tileLj256ELj1ELb0EJPaPiS1_jEEvDpT3_.numbered_sgpr, 12
	.set _Z6kernelI27subtract_right_partial_tileLj256ELj1ELb0EJPaPiS1_jEEvDpT3_.num_named_barrier, 0
	.set _Z6kernelI27subtract_right_partial_tileLj256ELj1ELb0EJPaPiS1_jEEvDpT3_.private_seg_size, 0
	.set _Z6kernelI27subtract_right_partial_tileLj256ELj1ELb0EJPaPiS1_jEEvDpT3_.uses_vcc, 0
	.set _Z6kernelI27subtract_right_partial_tileLj256ELj1ELb0EJPaPiS1_jEEvDpT3_.uses_flat_scratch, 0
	.set _Z6kernelI27subtract_right_partial_tileLj256ELj1ELb0EJPaPiS1_jEEvDpT3_.has_dyn_sized_stack, 0
	.set _Z6kernelI27subtract_right_partial_tileLj256ELj1ELb0EJPaPiS1_jEEvDpT3_.has_recursion, 0
	.set _Z6kernelI27subtract_right_partial_tileLj256ELj1ELb0EJPaPiS1_jEEvDpT3_.has_indirect_call, 0
	.section	.AMDGPU.csdata,"",@progbits
; Kernel info:
; codeLenInByte = 404
; TotalNumSgprs: 12
; NumVgprs: 4
; ScratchSize: 0
; MemoryBound: 0
; FloatMode: 240
; IeeeMode: 1
; LDSByteSize: 512 bytes/workgroup (compile time only)
; SGPRBlocks: 0
; VGPRBlocks: 0
; NumSGPRsForWavesPerEU: 12
; NumVGPRsForWavesPerEU: 4
; Occupancy: 16
; WaveLimiterHint : 0
; COMPUTE_PGM_RSRC2:SCRATCH_EN: 0
; COMPUTE_PGM_RSRC2:USER_SGPR: 2
; COMPUTE_PGM_RSRC2:TRAP_HANDLER: 0
; COMPUTE_PGM_RSRC2:TGID_X_EN: 1
; COMPUTE_PGM_RSRC2:TGID_Y_EN: 0
; COMPUTE_PGM_RSRC2:TGID_Z_EN: 0
; COMPUTE_PGM_RSRC2:TIDIG_COMP_CNT: 0
	.section	.text._Z6kernelI27subtract_right_partial_tileLj256ELj3ELb0EJPaPiS1_jEEvDpT3_,"axG",@progbits,_Z6kernelI27subtract_right_partial_tileLj256ELj3ELb0EJPaPiS1_jEEvDpT3_,comdat
	.protected	_Z6kernelI27subtract_right_partial_tileLj256ELj3ELb0EJPaPiS1_jEEvDpT3_ ; -- Begin function _Z6kernelI27subtract_right_partial_tileLj256ELj3ELb0EJPaPiS1_jEEvDpT3_
	.globl	_Z6kernelI27subtract_right_partial_tileLj256ELj3ELb0EJPaPiS1_jEEvDpT3_
	.p2align	8
	.type	_Z6kernelI27subtract_right_partial_tileLj256ELj3ELb0EJPaPiS1_jEEvDpT3_,@function
_Z6kernelI27subtract_right_partial_tileLj256ELj3ELb0EJPaPiS1_jEEvDpT3_: ; @_Z6kernelI27subtract_right_partial_tileLj256ELj3ELb0EJPaPiS1_jEEvDpT3_
; %bb.0:
	s_load_b128 s[4:7], s[0:1], 0x0
	s_mul_i32 s8, ttmp9, 0x300
	s_mov_b32 s9, 0
	s_load_b96 s[0:2], s[0:1], 0x10
	s_mov_b32 s10, ttmp9
	s_mov_b32 s11, s9
	v_mov_b32_e32 v4, 0
	v_mad_u32_u24 v2, v0, 3, 2
	v_mad_u32_u24 v3, v0, 3, 3
	s_wait_kmcnt 0x0
	s_add_nc_u64 s[4:5], s[4:5], s[8:9]
	s_clause 0x2
	global_load_u8 v5, v0, s[4:5] offset:256
	global_load_u8 v6, v0, s[4:5] offset:512
	global_load_u8 v7, v0, s[4:5]
	s_cvt_f32_u32 s3, s2
	s_lshl_b64 s[4:5], s[10:11], 2
	s_sub_co_i32 s10, 0, s2
	s_add_nc_u64 s[4:5], s[6:7], s[4:5]
	v_rcp_iflag_f32_e32 v1, s3
	s_delay_alu instid0(TRANS32_DEP_1) | instskip(SKIP_3) | instid1(SALU_CYCLE_2)
	v_readfirstlane_b32 s3, v1
	v_mad_u32_u24 v1, v0, 3, 1
	s_mul_f32 s3, s3, 0x4f7ffffe
	s_wait_alu 0xfffe
	s_cvt_u32_f32 s3, s3
	s_wait_alu 0xfffe
	s_delay_alu instid0(SALU_CYCLE_2) | instskip(NEXT) | instid1(SALU_CYCLE_1)
	s_mul_i32 s10, s10, s3
	s_mul_hi_u32 s10, s3, s10
	s_delay_alu instid0(SALU_CYCLE_1) | instskip(SKIP_2) | instid1(SALU_CYCLE_1)
	s_add_co_i32 s6, s3, s10
	s_load_b32 s3, s[4:5], 0x0
	s_mul_hi_u32 s4, s6, 0x300
	s_mul_i32 s5, s4, s2
	s_add_co_i32 s6, s4, 1
	s_sub_co_i32 s5, 0x300, s5
	s_delay_alu instid0(SALU_CYCLE_1)
	s_sub_co_i32 s7, s5, s2
	s_cmp_ge_u32 s5, s2
	s_cselect_b32 s4, s6, s4
	s_cselect_b32 s5, s7, s5
	s_add_co_i32 s6, s4, 1
	s_cmp_ge_u32 s5, s2
	s_cselect_b32 s4, s6, s4
	s_delay_alu instid0(SALU_CYCLE_1) | instskip(SKIP_2) | instid1(VALU_DEP_1)
	s_add_co_i32 s4, s4, 1
	s_wait_loadcnt 0x0
	v_perm_b32 v5, v7, v5, 0xc0c0004
	v_lshl_or_b32 v5, v6, 16, v5
	v_mov_b32_e32 v6, 0
	s_branch .LBB193_2
.LBB193_1:                              ;   in Loop: Header=BB193_2 Depth=1
	s_or_b32 exec_lo, exec_lo, s5
	v_lshrrev_b16 v9, 8, v5
	s_delay_alu instid0(VALU_DEP_2)
	v_add_nc_u16 v7, v6, v7
	v_add_nc_u16 v5, v8, v5
	s_add_co_i32 s3, s4, s3
	s_add_co_i32 s2, s2, -1
	v_add_nc_u16 v9, v4, v9
	v_and_b32_e32 v8, 0xff, v7
	s_wait_alu 0xfffe
	s_mul_hi_u32 s5, s3, 0xaaaaaaab
	s_wait_loadcnt 0x0
	s_lshr_b32 s5, s5, 9
	v_lshlrev_b16 v9, 8, v9
	v_lshlrev_b32_e32 v8, 16, v8
	s_mulk_i32 s5, 0x300
	s_barrier_signal -1
	s_sub_co_i32 s3, s3, s5
	v_perm_b32 v5, v5, v9, 0xc0c0104
	s_cmp_lg_u32 s2, 0
	s_barrier_wait -1
	global_inv scope:SCOPE_SE
	v_or_b32_e32 v5, v5, v8
	s_cbranch_scc0 .LBB193_4
.LBB193_2:                              ; =>This Inner Loop Header: Depth=1
	s_delay_alu instid0(VALU_DEP_1)
	v_lshrrev_b32_e32 v8, 8, v5
	v_lshrrev_b32_e32 v7, 16, v5
	v_perm_b32 v10, v5, v4, 0xc0c0004
	s_wait_kmcnt 0x0
	s_wait_alu 0xfffe
	v_cmp_gt_u32_e32 vcc_lo, s3, v1
	v_and_b32_e32 v6, 0xff, v6
	v_sub_nc_u16 v9, v5, v8
	v_sub_nc_u16 v8, v8, v7
	s_mov_b32 s5, exec_lo
	ds_store_b8 v0, v5 offset:256
	v_lshlrev_b32_e32 v6, 16, v6
	v_perm_b32 v4, v9, v4, 0xc0c0004
	v_lshlrev_b16 v8, 8, v8
	s_wait_dscnt 0x0
	s_barrier_signal -1
	s_barrier_wait -1
	s_wait_alu 0xfffd
	v_cndmask_b32_e32 v4, v10, v4, vcc_lo
	v_cmp_gt_u32_e32 vcc_lo, s3, v2
	global_inv scope:SCOPE_SE
	v_and_b32_e32 v9, 0xff, v4
	v_or_b32_e32 v4, v4, v6
	s_delay_alu instid0(VALU_DEP_2) | instskip(NEXT) | instid1(VALU_DEP_2)
	v_or_b32_e32 v6, v9, v8
	v_perm_b32 v8, v4, v5, 0xc0c0104
	s_delay_alu instid0(VALU_DEP_2) | instskip(SKIP_1) | instid1(VALU_DEP_1)
	v_and_b32_e32 v6, 0xffff, v6
	s_wait_alu 0xfffd
	v_cndmask_b32_e32 v8, v8, v6, vcc_lo
	v_mov_b32_e32 v6, v7
	s_delay_alu instid0(VALU_DEP_2) | instskip(NEXT) | instid1(VALU_DEP_1)
	v_and_or_b32 v4, 0xff0000, v4, v8
	v_lshrrev_b32_e32 v4, 8, v4
	v_cmpx_gt_u32_e64 s3, v3
	s_cbranch_execz .LBB193_1
; %bb.3:                                ;   in Loop: Header=BB193_2 Depth=1
	ds_load_u8 v6, v0 offset:257
	s_wait_dscnt 0x0
	v_sub_nc_u16 v6, v7, v6
	s_branch .LBB193_1
.LBB193_4:
	s_add_nc_u64 s[0:1], s[0:1], s[8:9]
	s_delay_alu instid0(VALU_DEP_1)
	v_lshrrev_b32_e32 v2, 8, v5
	v_add_co_u32 v0, s0, s0, v0
	s_wait_alu 0xf1ff
	v_add_co_ci_u32_e64 v1, null, s1, 0, s0
	s_clause 0x2
	global_store_b8 v[0:1], v5, off
	global_store_b8 v[0:1], v2, off offset:256
	global_store_b8 v[0:1], v7, off offset:512
	s_endpgm
	.section	.rodata,"a",@progbits
	.p2align	6, 0x0
	.amdhsa_kernel _Z6kernelI27subtract_right_partial_tileLj256ELj3ELb0EJPaPiS1_jEEvDpT3_
		.amdhsa_group_segment_fixed_size 512
		.amdhsa_private_segment_fixed_size 0
		.amdhsa_kernarg_size 28
		.amdhsa_user_sgpr_count 2
		.amdhsa_user_sgpr_dispatch_ptr 0
		.amdhsa_user_sgpr_queue_ptr 0
		.amdhsa_user_sgpr_kernarg_segment_ptr 1
		.amdhsa_user_sgpr_dispatch_id 0
		.amdhsa_user_sgpr_private_segment_size 0
		.amdhsa_wavefront_size32 1
		.amdhsa_uses_dynamic_stack 0
		.amdhsa_enable_private_segment 0
		.amdhsa_system_sgpr_workgroup_id_x 1
		.amdhsa_system_sgpr_workgroup_id_y 0
		.amdhsa_system_sgpr_workgroup_id_z 0
		.amdhsa_system_sgpr_workgroup_info 0
		.amdhsa_system_vgpr_workitem_id 0
		.amdhsa_next_free_vgpr 11
		.amdhsa_next_free_sgpr 12
		.amdhsa_reserve_vcc 1
		.amdhsa_float_round_mode_32 0
		.amdhsa_float_round_mode_16_64 0
		.amdhsa_float_denorm_mode_32 3
		.amdhsa_float_denorm_mode_16_64 3
		.amdhsa_fp16_overflow 0
		.amdhsa_workgroup_processor_mode 1
		.amdhsa_memory_ordered 1
		.amdhsa_forward_progress 1
		.amdhsa_inst_pref_size 6
		.amdhsa_round_robin_scheduling 0
		.amdhsa_exception_fp_ieee_invalid_op 0
		.amdhsa_exception_fp_denorm_src 0
		.amdhsa_exception_fp_ieee_div_zero 0
		.amdhsa_exception_fp_ieee_overflow 0
		.amdhsa_exception_fp_ieee_underflow 0
		.amdhsa_exception_fp_ieee_inexact 0
		.amdhsa_exception_int_div_zero 0
	.end_amdhsa_kernel
	.section	.text._Z6kernelI27subtract_right_partial_tileLj256ELj3ELb0EJPaPiS1_jEEvDpT3_,"axG",@progbits,_Z6kernelI27subtract_right_partial_tileLj256ELj3ELb0EJPaPiS1_jEEvDpT3_,comdat
.Lfunc_end193:
	.size	_Z6kernelI27subtract_right_partial_tileLj256ELj3ELb0EJPaPiS1_jEEvDpT3_, .Lfunc_end193-_Z6kernelI27subtract_right_partial_tileLj256ELj3ELb0EJPaPiS1_jEEvDpT3_
                                        ; -- End function
	.set _Z6kernelI27subtract_right_partial_tileLj256ELj3ELb0EJPaPiS1_jEEvDpT3_.num_vgpr, 11
	.set _Z6kernelI27subtract_right_partial_tileLj256ELj3ELb0EJPaPiS1_jEEvDpT3_.num_agpr, 0
	.set _Z6kernelI27subtract_right_partial_tileLj256ELj3ELb0EJPaPiS1_jEEvDpT3_.numbered_sgpr, 12
	.set _Z6kernelI27subtract_right_partial_tileLj256ELj3ELb0EJPaPiS1_jEEvDpT3_.num_named_barrier, 0
	.set _Z6kernelI27subtract_right_partial_tileLj256ELj3ELb0EJPaPiS1_jEEvDpT3_.private_seg_size, 0
	.set _Z6kernelI27subtract_right_partial_tileLj256ELj3ELb0EJPaPiS1_jEEvDpT3_.uses_vcc, 1
	.set _Z6kernelI27subtract_right_partial_tileLj256ELj3ELb0EJPaPiS1_jEEvDpT3_.uses_flat_scratch, 0
	.set _Z6kernelI27subtract_right_partial_tileLj256ELj3ELb0EJPaPiS1_jEEvDpT3_.has_dyn_sized_stack, 0
	.set _Z6kernelI27subtract_right_partial_tileLj256ELj3ELb0EJPaPiS1_jEEvDpT3_.has_recursion, 0
	.set _Z6kernelI27subtract_right_partial_tileLj256ELj3ELb0EJPaPiS1_jEEvDpT3_.has_indirect_call, 0
	.section	.AMDGPU.csdata,"",@progbits
; Kernel info:
; codeLenInByte = 744
; TotalNumSgprs: 14
; NumVgprs: 11
; ScratchSize: 0
; MemoryBound: 0
; FloatMode: 240
; IeeeMode: 1
; LDSByteSize: 512 bytes/workgroup (compile time only)
; SGPRBlocks: 0
; VGPRBlocks: 1
; NumSGPRsForWavesPerEU: 14
; NumVGPRsForWavesPerEU: 11
; Occupancy: 16
; WaveLimiterHint : 1
; COMPUTE_PGM_RSRC2:SCRATCH_EN: 0
; COMPUTE_PGM_RSRC2:USER_SGPR: 2
; COMPUTE_PGM_RSRC2:TRAP_HANDLER: 0
; COMPUTE_PGM_RSRC2:TGID_X_EN: 1
; COMPUTE_PGM_RSRC2:TGID_Y_EN: 0
; COMPUTE_PGM_RSRC2:TGID_Z_EN: 0
; COMPUTE_PGM_RSRC2:TIDIG_COMP_CNT: 0
	.section	.text._Z6kernelI27subtract_right_partial_tileLj256ELj4ELb0EJPaPiS1_jEEvDpT3_,"axG",@progbits,_Z6kernelI27subtract_right_partial_tileLj256ELj4ELb0EJPaPiS1_jEEvDpT3_,comdat
	.protected	_Z6kernelI27subtract_right_partial_tileLj256ELj4ELb0EJPaPiS1_jEEvDpT3_ ; -- Begin function _Z6kernelI27subtract_right_partial_tileLj256ELj4ELb0EJPaPiS1_jEEvDpT3_
	.globl	_Z6kernelI27subtract_right_partial_tileLj256ELj4ELb0EJPaPiS1_jEEvDpT3_
	.p2align	8
	.type	_Z6kernelI27subtract_right_partial_tileLj256ELj4ELb0EJPaPiS1_jEEvDpT3_,@function
_Z6kernelI27subtract_right_partial_tileLj256ELj4ELb0EJPaPiS1_jEEvDpT3_: ; @_Z6kernelI27subtract_right_partial_tileLj256ELj4ELb0EJPaPiS1_jEEvDpT3_
; %bb.0:
	s_load_b128 s[4:7], s[0:1], 0x0
	s_lshl_b32 s8, ttmp9, 10
	s_mov_b32 s9, 0
	s_load_b96 s[0:2], s[0:1], 0x10
	s_mov_b32 s10, ttmp9
	s_mov_b32 s11, s9
	v_dual_mov_b32 v4, 0 :: v_dual_lshlrev_b32 v5, 2, v0
	v_mov_b32_e32 v6, 0
	s_delay_alu instid0(VALU_DEP_2)
	v_or_b32_e32 v2, 2, v5
	v_or_b32_e32 v3, 3, v5
	s_wait_kmcnt 0x0
	s_add_nc_u64 s[4:5], s[4:5], s[8:9]
	s_clause 0x3
	global_load_u8 v7, v0, s[4:5] offset:256
	global_load_u8 v8, v0, s[4:5] offset:512
	global_load_u8 v9, v0, s[4:5]
	global_load_u8 v10, v0, s[4:5] offset:768
	s_cvt_f32_u32 s3, s2
	s_lshl_b64 s[4:5], s[10:11], 2
	s_sub_co_i32 s10, 0, s2
	s_add_nc_u64 s[4:5], s[6:7], s[4:5]
	v_rcp_iflag_f32_e32 v1, s3
	s_delay_alu instid0(TRANS32_DEP_1) | instskip(SKIP_4) | instid1(SALU_CYCLE_2)
	v_readfirstlane_b32 s3, v1
	v_or_b32_e32 v1, 1, v5
	v_add_nc_u32_e32 v5, 4, v5
	s_mul_f32 s3, s3, 0x4f7ffffe
	s_wait_alu 0xfffe
	s_cvt_u32_f32 s3, s3
	s_wait_alu 0xfffe
	s_delay_alu instid0(SALU_CYCLE_2) | instskip(NEXT) | instid1(SALU_CYCLE_1)
	s_mul_i32 s10, s10, s3
	s_mul_hi_u32 s10, s3, s10
	s_delay_alu instid0(SALU_CYCLE_1) | instskip(SKIP_2) | instid1(SALU_CYCLE_1)
	s_add_co_i32 s6, s3, s10
	s_load_b32 s3, s[4:5], 0x0
	s_lshr_b32 s4, s6, 22
	s_mul_i32 s5, s4, s2
	s_add_co_i32 s6, s4, 1
	s_sub_co_i32 s5, 0x400, s5
	s_delay_alu instid0(SALU_CYCLE_1)
	s_sub_co_i32 s7, s5, s2
	s_cmp_ge_u32 s5, s2
	s_cselect_b32 s4, s6, s4
	s_cselect_b32 s5, s7, s5
	s_add_co_i32 s6, s4, 1
	s_cmp_ge_u32 s5, s2
	s_cselect_b32 s4, s6, s4
	s_delay_alu instid0(SALU_CYCLE_1) | instskip(SKIP_4) | instid1(VALU_DEP_1)
	s_add_co_i32 s4, s4, 1
	s_wait_loadcnt 0x1
	v_perm_b32 v7, v9, v7, 0xc0c0004
	s_wait_loadcnt 0x0
	v_perm_b32 v8, v8, v10, 0xc0c0004
	v_lshl_or_b32 v7, v8, 16, v7
	v_mov_b32_e32 v8, 0
	s_branch .LBB194_2
.LBB194_1:                              ;   in Loop: Header=BB194_2 Depth=1
	s_or_b32 exec_lo, exec_lo, s5
	v_lshrrev_b16 v12, 8, v7
	v_add_nc_u16 v7, v11, v7
	v_add_nc_u16 v9, v6, v9
	;; [unrolled: 1-line block ×3, first 2 shown]
	s_add_co_i32 s3, s4, s3
	v_add_nc_u16 v11, v4, v12
	v_and_b32_e32 v7, 0xff, v7
	v_and_b32_e32 v9, 0xff, v9
	v_lshlrev_b16 v10, 8, v10
	s_add_co_i32 s2, s2, -1
	v_lshlrev_b16 v11, 8, v11
	s_wait_alu 0xfffe
	s_and_b32 s3, s3, 0x3ff
	s_cmp_lg_u32 s2, 0
	v_or_b32_e32 v9, v9, v10
	s_wait_loadcnt 0x0
	v_or_b32_e32 v7, v7, v11
	s_barrier_signal -1
	s_barrier_wait -1
	v_lshlrev_b32_e32 v9, 16, v9
	global_inv scope:SCOPE_SE
	v_and_b32_e32 v7, 0xffff, v7
	s_delay_alu instid0(VALU_DEP_1)
	v_or_b32_e32 v7, v7, v9
	s_cbranch_scc0 .LBB194_4
.LBB194_2:                              ; =>This Inner Loop Header: Depth=1
	s_delay_alu instid0(VALU_DEP_1)
	v_lshrrev_b32_e32 v10, 8, v7
	v_lshrrev_b32_e32 v9, 16, v7
	v_perm_b32 v12, v7, v4, 0xc0c0004
	s_wait_kmcnt 0x0
	s_wait_alu 0xfffe
	v_cmp_gt_u32_e32 vcc_lo, s3, v1
	v_perm_b32 v6, v6, v8, 0xc0c0004
	v_sub_nc_u16 v11, v7, v10
	v_sub_nc_u16 v10, v10, v9
	s_mov_b32 s5, exec_lo
	ds_store_b8 v0, v7 offset:256
	s_wait_dscnt 0x0
	v_perm_b32 v4, v11, v4, 0xc0c0004
	v_lshlrev_b16 v8, 8, v10
	s_barrier_signal -1
	s_barrier_wait -1
	global_inv scope:SCOPE_SE
	s_wait_alu 0xfffd
	v_cndmask_b32_e32 v4, v12, v4, vcc_lo
	v_cmp_gt_u32_e32 vcc_lo, s3, v2
	s_delay_alu instid0(VALU_DEP_2) | instskip(SKIP_1) | instid1(VALU_DEP_2)
	v_and_b32_e32 v10, 0xff, v4
	v_lshl_or_b32 v4, v6, 16, v4
	v_or_b32_e32 v6, v10, v8
	s_delay_alu instid0(VALU_DEP_2) | instskip(SKIP_1) | instid1(VALU_DEP_3)
	v_perm_b32 v8, v4, v7, 0xc0c0104
	v_lshrrev_b32_e32 v10, 24, v7
	v_and_b32_e32 v6, 0xffff, v6
	s_wait_alu 0xfffd
	s_delay_alu instid0(VALU_DEP_1) | instskip(NEXT) | instid1(VALU_DEP_3)
	v_cndmask_b32_e32 v11, v8, v6, vcc_lo
	v_sub_nc_u16 v6, v9, v10
	v_cmp_gt_u32_e32 vcc_lo, s3, v3
	s_delay_alu instid0(VALU_DEP_3) | instskip(NEXT) | instid1(VALU_DEP_1)
	v_and_or_b32 v4, 0xffff0000, v4, v11
	v_perm_b32 v8, v7, v4, 0xc0c0306
	s_delay_alu instid0(VALU_DEP_4) | instskip(SKIP_1) | instid1(VALU_DEP_1)
	v_perm_b32 v6, v6, v4, 0xc0c0304
	s_wait_alu 0xfffd
	v_cndmask_b32_e32 v6, v8, v6, vcc_lo
	v_mov_b32_e32 v8, v10
	s_delay_alu instid0(VALU_DEP_2) | instskip(NEXT) | instid1(VALU_DEP_1)
	v_perm_b32 v4, v6, v4, 0x504010c
	v_lshrrev_b32_e32 v4, 8, v4
	v_cmpx_gt_u32_e64 s3, v5
	s_cbranch_execz .LBB194_1
; %bb.3:                                ;   in Loop: Header=BB194_2 Depth=1
	ds_load_u8 v8, v0 offset:257
	s_wait_dscnt 0x0
	v_sub_nc_u16 v8, v10, v8
	s_branch .LBB194_1
.LBB194_4:
	s_add_nc_u64 s[0:1], s[0:1], s[8:9]
	s_delay_alu instid0(VALU_DEP_1)
	v_lshrrev_b32_e32 v2, 8, v7
	v_add_co_u32 v0, s0, s0, v0
	s_wait_alu 0xf1ff
	v_add_co_ci_u32_e64 v1, null, s1, 0, s0
	v_lshrrev_b32_e32 v3, 24, v7
	s_clause 0x3
	global_store_b8 v[0:1], v7, off
	global_store_b8 v[0:1], v2, off offset:256
	global_store_d16_hi_b8 v[0:1], v7, off offset:512
	global_store_b8 v[0:1], v3, off offset:768
	s_endpgm
	.section	.rodata,"a",@progbits
	.p2align	6, 0x0
	.amdhsa_kernel _Z6kernelI27subtract_right_partial_tileLj256ELj4ELb0EJPaPiS1_jEEvDpT3_
		.amdhsa_group_segment_fixed_size 512
		.amdhsa_private_segment_fixed_size 0
		.amdhsa_kernarg_size 28
		.amdhsa_user_sgpr_count 2
		.amdhsa_user_sgpr_dispatch_ptr 0
		.amdhsa_user_sgpr_queue_ptr 0
		.amdhsa_user_sgpr_kernarg_segment_ptr 1
		.amdhsa_user_sgpr_dispatch_id 0
		.amdhsa_user_sgpr_private_segment_size 0
		.amdhsa_wavefront_size32 1
		.amdhsa_uses_dynamic_stack 0
		.amdhsa_enable_private_segment 0
		.amdhsa_system_sgpr_workgroup_id_x 1
		.amdhsa_system_sgpr_workgroup_id_y 0
		.amdhsa_system_sgpr_workgroup_id_z 0
		.amdhsa_system_sgpr_workgroup_info 0
		.amdhsa_system_vgpr_workitem_id 0
		.amdhsa_next_free_vgpr 13
		.amdhsa_next_free_sgpr 12
		.amdhsa_reserve_vcc 1
		.amdhsa_float_round_mode_32 0
		.amdhsa_float_round_mode_16_64 0
		.amdhsa_float_denorm_mode_32 3
		.amdhsa_float_denorm_mode_16_64 3
		.amdhsa_fp16_overflow 0
		.amdhsa_workgroup_processor_mode 1
		.amdhsa_memory_ordered 1
		.amdhsa_forward_progress 1
		.amdhsa_inst_pref_size 7
		.amdhsa_round_robin_scheduling 0
		.amdhsa_exception_fp_ieee_invalid_op 0
		.amdhsa_exception_fp_denorm_src 0
		.amdhsa_exception_fp_ieee_div_zero 0
		.amdhsa_exception_fp_ieee_overflow 0
		.amdhsa_exception_fp_ieee_underflow 0
		.amdhsa_exception_fp_ieee_inexact 0
		.amdhsa_exception_int_div_zero 0
	.end_amdhsa_kernel
	.section	.text._Z6kernelI27subtract_right_partial_tileLj256ELj4ELb0EJPaPiS1_jEEvDpT3_,"axG",@progbits,_Z6kernelI27subtract_right_partial_tileLj256ELj4ELb0EJPaPiS1_jEEvDpT3_,comdat
.Lfunc_end194:
	.size	_Z6kernelI27subtract_right_partial_tileLj256ELj4ELb0EJPaPiS1_jEEvDpT3_, .Lfunc_end194-_Z6kernelI27subtract_right_partial_tileLj256ELj4ELb0EJPaPiS1_jEEvDpT3_
                                        ; -- End function
	.set _Z6kernelI27subtract_right_partial_tileLj256ELj4ELb0EJPaPiS1_jEEvDpT3_.num_vgpr, 13
	.set _Z6kernelI27subtract_right_partial_tileLj256ELj4ELb0EJPaPiS1_jEEvDpT3_.num_agpr, 0
	.set _Z6kernelI27subtract_right_partial_tileLj256ELj4ELb0EJPaPiS1_jEEvDpT3_.numbered_sgpr, 12
	.set _Z6kernelI27subtract_right_partial_tileLj256ELj4ELb0EJPaPiS1_jEEvDpT3_.num_named_barrier, 0
	.set _Z6kernelI27subtract_right_partial_tileLj256ELj4ELb0EJPaPiS1_jEEvDpT3_.private_seg_size, 0
	.set _Z6kernelI27subtract_right_partial_tileLj256ELj4ELb0EJPaPiS1_jEEvDpT3_.uses_vcc, 1
	.set _Z6kernelI27subtract_right_partial_tileLj256ELj4ELb0EJPaPiS1_jEEvDpT3_.uses_flat_scratch, 0
	.set _Z6kernelI27subtract_right_partial_tileLj256ELj4ELb0EJPaPiS1_jEEvDpT3_.has_dyn_sized_stack, 0
	.set _Z6kernelI27subtract_right_partial_tileLj256ELj4ELb0EJPaPiS1_jEEvDpT3_.has_recursion, 0
	.set _Z6kernelI27subtract_right_partial_tileLj256ELj4ELb0EJPaPiS1_jEEvDpT3_.has_indirect_call, 0
	.section	.AMDGPU.csdata,"",@progbits
; Kernel info:
; codeLenInByte = 876
; TotalNumSgprs: 14
; NumVgprs: 13
; ScratchSize: 0
; MemoryBound: 0
; FloatMode: 240
; IeeeMode: 1
; LDSByteSize: 512 bytes/workgroup (compile time only)
; SGPRBlocks: 0
; VGPRBlocks: 1
; NumSGPRsForWavesPerEU: 14
; NumVGPRsForWavesPerEU: 13
; Occupancy: 16
; WaveLimiterHint : 1
; COMPUTE_PGM_RSRC2:SCRATCH_EN: 0
; COMPUTE_PGM_RSRC2:USER_SGPR: 2
; COMPUTE_PGM_RSRC2:TRAP_HANDLER: 0
; COMPUTE_PGM_RSRC2:TGID_X_EN: 1
; COMPUTE_PGM_RSRC2:TGID_Y_EN: 0
; COMPUTE_PGM_RSRC2:TGID_Z_EN: 0
; COMPUTE_PGM_RSRC2:TIDIG_COMP_CNT: 0
	.section	.text._Z6kernelI27subtract_right_partial_tileLj256ELj8ELb0EJPaPiS1_jEEvDpT3_,"axG",@progbits,_Z6kernelI27subtract_right_partial_tileLj256ELj8ELb0EJPaPiS1_jEEvDpT3_,comdat
	.protected	_Z6kernelI27subtract_right_partial_tileLj256ELj8ELb0EJPaPiS1_jEEvDpT3_ ; -- Begin function _Z6kernelI27subtract_right_partial_tileLj256ELj8ELb0EJPaPiS1_jEEvDpT3_
	.globl	_Z6kernelI27subtract_right_partial_tileLj256ELj8ELb0EJPaPiS1_jEEvDpT3_
	.p2align	8
	.type	_Z6kernelI27subtract_right_partial_tileLj256ELj8ELb0EJPaPiS1_jEEvDpT3_,@function
_Z6kernelI27subtract_right_partial_tileLj256ELj8ELb0EJPaPiS1_jEEvDpT3_: ; @_Z6kernelI27subtract_right_partial_tileLj256ELj8ELb0EJPaPiS1_jEEvDpT3_
; %bb.0:
	s_load_b128 s[4:7], s[0:1], 0x0
	s_lshl_b32 s8, ttmp9, 11
	s_mov_b32 s9, 0
	s_load_b96 s[0:2], s[0:1], 0x10
	s_mov_b32 s10, ttmp9
	s_mov_b32 s11, s9
	v_dual_mov_b32 v9, 0 :: v_dual_lshlrev_b32 v8, 3, v0
	s_delay_alu instid0(VALU_DEP_1)
	v_or_b32_e32 v2, 2, v8
	v_or_b32_e32 v3, 3, v8
	;; [unrolled: 1-line block ×6, first 2 shown]
	s_wait_kmcnt 0x0
	s_add_nc_u64 s[4:5], s[4:5], s[8:9]
	s_clause 0x7
	global_load_u8 v10, v0, s[4:5] offset:256
	global_load_u8 v11, v0, s[4:5] offset:1536
	;; [unrolled: 1-line block ×4, first 2 shown]
	global_load_u8 v14, v0, s[4:5]
	global_load_u8 v15, v0, s[4:5] offset:768
	global_load_u8 v16, v0, s[4:5] offset:1280
	;; [unrolled: 1-line block ×3, first 2 shown]
	s_cvt_f32_u32 s3, s2
	s_lshl_b64 s[4:5], s[10:11], 2
	s_sub_co_i32 s10, 0, s2
	s_add_nc_u64 s[4:5], s[6:7], s[4:5]
	v_rcp_iflag_f32_e32 v1, s3
	s_delay_alu instid0(TRANS32_DEP_1) | instskip(SKIP_4) | instid1(SALU_CYCLE_2)
	v_readfirstlane_b32 s3, v1
	v_or_b32_e32 v1, 1, v8
	v_add_nc_u32_e32 v8, 8, v8
	s_mul_f32 s3, s3, 0x4f7ffffe
	s_wait_alu 0xfffe
	s_cvt_u32_f32 s3, s3
	s_wait_alu 0xfffe
	s_delay_alu instid0(SALU_CYCLE_2) | instskip(NEXT) | instid1(SALU_CYCLE_1)
	s_mul_i32 s10, s10, s3
	s_mul_hi_u32 s10, s3, s10
	s_delay_alu instid0(SALU_CYCLE_1)
	s_add_co_i32 s3, s3, s10
	s_wait_alu 0xfffe
	s_lshr_b32 s10, s3, 21
	s_load_b32 s3, s[4:5], 0x0
	s_mul_i32 s6, s10, s2
	s_add_co_i32 s5, s10, 1
	s_sub_co_i32 s4, 0x800, s6
	s_delay_alu instid0(SALU_CYCLE_1)
	s_sub_co_i32 s6, s4, s2
	s_cmp_ge_u32 s4, s2
	s_cselect_b32 s5, s5, s10
	s_cselect_b32 s4, s6, s4
	s_add_co_i32 s6, s5, 1
	s_cmp_ge_u32 s4, s2
	s_cselect_b32 s4, s6, s5
	s_delay_alu instid0(SALU_CYCLE_1)
	s_add_co_i32 s4, s4, 1
	s_wait_loadcnt 0x3
	v_perm_b32 v10, v14, v10, 0xc0c0004
	s_wait_loadcnt 0x2
	v_perm_b32 v13, v13, v15, 0xc0c0004
	;; [unrolled: 2-line block ×4, first 2 shown]
	v_lshl_or_b32 v10, v13, 16, v10
	s_delay_alu instid0(VALU_DEP_2)
	v_lshl_or_b32 v11, v11, 16, v12
	v_mov_b32_e32 v12, 0
	s_branch .LBB195_2
.LBB195_1:                              ;   in Loop: Header=BB195_2 Depth=1
	s_or_b32 exec_lo, exec_lo, s5
	s_delay_alu instid0(VALU_DEP_1)
	v_lshrrev_b32_e32 v17, 24, v12
	v_lshrrev_b16 v18, 8, v10
	v_lshrrev_b16 v19, 8, v11
	;; [unrolled: 1-line block ×4, first 2 shown]
	v_add_nc_u16 v16, v17, v16
	v_lshrrev_b32_e32 v23, 16, v12
	v_add_nc_u16 v10, v9, v10
	v_add_nc_u16 v18, v20, v18
	;; [unrolled: 1-line block ×3, first 2 shown]
	v_lshlrev_b16 v20, 8, v16
	v_add_nc_u16 v16, v22, v19
	v_lshrrev_b32_e32 v21, 16, v9
	v_lshrrev_b32_e32 v17, 24, v9
	v_add_nc_u16 v14, v23, v14
	v_lshlrev_b16 v18, 8, v18
	v_and_b32_e32 v10, 0xff, v10
	v_lshlrev_b16 v16, 8, v16
	v_and_b32_e32 v11, 0xff, v11
	v_add_nc_u16 v15, v17, v15
	v_add_nc_u16 v13, v21, v13
	v_or_b32_e32 v10, v10, v18
	v_and_b32_e32 v14, 0xff, v14
	v_or_b32_e32 v11, v11, v16
	v_lshlrev_b16 v17, 8, v15
	v_and_b32_e32 v16, 0xff, v13
	v_and_b32_e32 v13, 0xffff, v10
	v_or_b32_e32 v15, v14, v20
	v_and_b32_e32 v14, 0xffff, v11
	v_lshrrev_b32_e32 v19, 8, v20
	v_or_b32_e32 v16, v16, v17
	v_lshrrev_b32_e32 v18, 8, v13
	v_lshrrev_b32_e32 v17, 8, v17
	;; [unrolled: 1-line block ×3, first 2 shown]
	v_and_b32_e32 v10, 0xff, v10
	v_and_b32_e32 v21, 0xff, v16
	v_lshlrev_b16 v18, 8, v18
	v_lshlrev_b16 v17, 8, v17
	v_and_b32_e32 v11, 0xff, v11
	v_lshlrev_b16 v20, 8, v20
	v_and_b32_e32 v22, 0xff, v15
	v_lshlrev_b16 v19, 8, v19
	v_or_b32_e32 v10, v10, v18
	v_or_b32_e32 v17, v21, v17
	;; [unrolled: 1-line block ×3, first 2 shown]
	s_add_co_i32 s3, s4, s3
	v_or_b32_e32 v18, v22, v19
	v_and_b32_e32 v10, 0xffff, v10
	v_lshlrev_b32_e32 v17, 16, v17
	v_and_b32_e32 v11, 0xffff, v11
	s_add_co_i32 s2, s2, -1
	v_lshlrev_b32_e32 v18, 16, v18
	s_wait_alu 0xfffe
	s_and_b32 s3, s3, 0x7ff
	v_or_b32_e32 v10, v10, v17
	s_cmp_lg_u32 s2, 0
	s_wait_loadcnt 0x0
	v_or_b32_e32 v11, v11, v18
	s_barrier_signal -1
	s_barrier_wait -1
	global_inv scope:SCOPE_SE
	s_cbranch_scc0 .LBB195_4
.LBB195_2:                              ; =>This Inner Loop Header: Depth=1
	s_delay_alu instid0(VALU_DEP_2)
	v_lshrrev_b32_e32 v15, 8, v11
	v_and_b32_e32 v14, 0xff, v11
	v_lshrrev_b32_e32 v16, 8, v10
	v_perm_b32 v19, v10, v9, 0xc0c0104
	s_wait_kmcnt 0x0
	s_wait_alu 0xfffe
	v_cmp_gt_u32_e32 vcc_lo, s3, v1
	v_sub_nc_u16 v13, v11, v15
	v_and_b32_e32 v17, 0xffffff00, v12
	v_sub_nc_u16 v20, v10, v16
	v_and_b32_e32 v12, 0xffff0000, v12
	s_mov_b32 s5, exec_lo
	v_and_b32_e32 v18, 0xff, v13
	v_or_b32_e32 v21, v14, v17
	v_lshrrev_b32_e32 v13, 16, v10
	v_lshrrev_b32_e32 v14, 16, v11
	ds_store_b8 v0, v10 offset:256
	v_or_b32_e32 v17, v18, v17
	v_perm_b32 v18, v20, v9, 0xc0c0104
	v_and_b32_e32 v20, 0xffff, v21
	v_sub_nc_u16 v16, v16, v13
	v_sub_nc_u16 v15, v15, v14
	s_wait_dscnt 0x0
	s_wait_alu 0xfffd
	v_cndmask_b32_e32 v18, v19, v18, vcc_lo
	v_or_b32_e32 v19, v20, v12
	v_cmp_gt_u32_e32 vcc_lo, s3, v5
	v_and_b32_e32 v17, 0xffff, v17
	v_lshlrev_b16 v16, 8, v16
	v_and_or_b32 v9, 0xffff0000, v9, v18
	s_barrier_signal -1
	s_barrier_wait -1
	v_or_b32_e32 v12, v17, v12
	global_inv scope:SCOPE_SE
	v_perm_b32 v20, v9, v10, 0xc0c0104
	s_wait_alu 0xfffd
	v_cndmask_b32_e32 v12, v19, v12, vcc_lo
	v_cmp_gt_u32_e32 vcc_lo, s3, v2
	v_and_b32_e32 v17, 0xff, v18
	s_delay_alu instid0(VALU_DEP_3) | instskip(SKIP_1) | instid1(VALU_DEP_3)
	v_and_b32_e32 v18, 0xff, v12
	v_and_b32_e32 v12, 0xffff0000, v12
	v_or_b32_e32 v16, v17, v16
	v_lshlrev_b16 v17, 8, v15
	v_lshrrev_b32_e32 v15, 24, v10
	s_delay_alu instid0(VALU_DEP_3) | instskip(NEXT) | instid1(VALU_DEP_3)
	v_and_b32_e32 v16, 0xffff, v16
	v_or_b32_e32 v17, v18, v17
	s_wait_alu 0xfffd
	s_delay_alu instid0(VALU_DEP_1) | instskip(SKIP_1) | instid1(VALU_DEP_2)
	v_dual_cndmask_b32 v16, v20, v16 :: v_dual_and_b32 v17, 0xffff, v17
	v_cmp_gt_u32_e32 vcc_lo, s3, v6
	v_and_or_b32 v9, 0xffff0000, v9, v16
	s_delay_alu instid0(VALU_DEP_3) | instskip(SKIP_2) | instid1(VALU_DEP_2)
	v_or_b32_e32 v17, v17, v12
	v_and_b32_e32 v19, 0xffffff00, v11
	v_sub_nc_u16 v16, v13, v15
	v_or_b32_e32 v18, v18, v19
	s_delay_alu instid0(VALU_DEP_2) | instskip(SKIP_1) | instid1(VALU_DEP_3)
	v_perm_b32 v19, v16, v9, 0xc0c0304
	v_lshrrev_b32_e32 v16, 24, v11
	v_and_b32_e32 v18, 0xffff, v18
	s_delay_alu instid0(VALU_DEP_2) | instskip(NEXT) | instid1(VALU_DEP_2)
	v_sub_nc_u16 v20, v14, v16
	v_or_b32_e32 v12, v18, v12
	v_perm_b32 v18, v10, v9, 0xc0c0306
	s_delay_alu instid0(VALU_DEP_3) | instskip(SKIP_1) | instid1(VALU_DEP_3)
	v_and_b32_e32 v20, 0xff, v20
	s_wait_alu 0xfffd
	v_cndmask_b32_e32 v12, v12, v17, vcc_lo
	v_cmp_gt_u32_e32 vcc_lo, s3, v3
	v_sub_nc_u16 v17, v15, v11
	s_wait_alu 0xfffd
	v_cndmask_b32_e32 v18, v18, v19, vcc_lo
	s_delay_alu instid0(VALU_DEP_2)
	v_lshlrev_b16 v17, 8, v17
	v_lshrrev_b32_e32 v19, 16, v12
	v_cmp_gt_u32_e32 vcc_lo, s3, v4
	v_and_b32_e32 v12, 0xffff, v12
	v_lshlrev_b32_e32 v22, 16, v18
	v_and_b32_e32 v18, 0xff, v18
	v_and_b32_e32 v19, 0xffffff00, v19
	s_delay_alu instid0(VALU_DEP_3) | instskip(NEXT) | instid1(VALU_DEP_3)
	v_and_or_b32 v9, 0xffff, v9, v22
	v_or_b32_e32 v17, v18, v17
	s_delay_alu instid0(VALU_DEP_2) | instskip(SKIP_1) | instid1(VALU_DEP_1)
	v_perm_b32 v18, v9, v10, 0xc0c0306
	s_wait_alu 0xfffd
	v_cndmask_b32_e32 v17, v18, v17, vcc_lo
	v_cmp_gt_u32_e32 vcc_lo, s3, v7
	v_and_b32_e32 v21, 0xff, v14
	s_delay_alu instid0(VALU_DEP_3) | instskip(NEXT) | instid1(VALU_DEP_2)
	v_lshlrev_b32_e32 v17, 16, v17
	v_or_b32_e32 v21, v21, v19
	v_or_b32_e32 v19, v20, v19
	s_delay_alu instid0(VALU_DEP_3) | instskip(NEXT) | instid1(VALU_DEP_3)
	v_and_or_b32 v9, 0xffff, v9, v17
	v_lshlrev_b32_e32 v20, 16, v21
	s_delay_alu instid0(VALU_DEP_3) | instskip(NEXT) | instid1(VALU_DEP_2)
	v_lshlrev_b32_e32 v19, 16, v19
	v_or_b32_e32 v18, v12, v20
	s_delay_alu instid0(VALU_DEP_2) | instskip(SKIP_1) | instid1(VALU_DEP_1)
	v_or_b32_e32 v12, v12, v19
	s_wait_alu 0xfffd
	v_cndmask_b32_e32 v12, v18, v12, vcc_lo
	s_delay_alu instid0(VALU_DEP_1)
	v_perm_b32 v12, v12, v11, 0x3060504
	v_cmpx_gt_u32_e64 s3, v8
	s_cbranch_execz .LBB195_1
; %bb.3:                                ;   in Loop: Header=BB195_2 Depth=1
	ds_load_u8 v17, v0 offset:257
	v_lshrrev_b32_e32 v18, 8, v12
	v_lshrrev_b32_e32 v19, 16, v12
	v_and_b32_e32 v12, 0xff, v12
	v_perm_b32 v9, v9, v9, 0x3020104
	s_delay_alu instid0(VALU_DEP_4) | instskip(NEXT) | instid1(VALU_DEP_4)
	v_lshlrev_b16 v18, 8, v18
	v_and_b32_e32 v19, 0xff, v19
	s_delay_alu instid0(VALU_DEP_2) | instskip(NEXT) | instid1(VALU_DEP_1)
	v_or_b32_e32 v12, v12, v18
	v_and_b32_e32 v12, 0xffff, v12
	s_wait_dscnt 0x0
	v_sub_nc_u16 v17, v16, v17
	s_delay_alu instid0(VALU_DEP_1) | instskip(NEXT) | instid1(VALU_DEP_1)
	v_lshlrev_b16 v17, 8, v17
	v_or_b32_e32 v17, v19, v17
	s_delay_alu instid0(VALU_DEP_1) | instskip(NEXT) | instid1(VALU_DEP_1)
	v_lshlrev_b32_e32 v17, 16, v17
	v_or_b32_e32 v12, v12, v17
	s_branch .LBB195_1
.LBB195_4:
	v_lshlrev_b32_e32 v2, 16, v16
	v_lshlrev_b32_e32 v1, 16, v15
	s_add_nc_u64 s[0:1], s[0:1], s[8:9]
	s_delay_alu instid0(SALU_CYCLE_1) | instskip(NEXT) | instid1(VALU_DEP_3)
	v_add_co_u32 v0, s0, s0, v0
	v_or_b32_e32 v2, v13, v2
	s_delay_alu instid0(VALU_DEP_3) | instskip(SKIP_2) | instid1(VALU_DEP_3)
	v_or_b32_e32 v3, v14, v1
	s_wait_alu 0xf1ff
	v_add_co_ci_u32_e64 v1, null, s1, 0, s0
	v_lshrrev_b32_e32 v4, 8, v2
	v_lshrrev_b32_e32 v5, 24, v2
	;; [unrolled: 1-line block ×4, first 2 shown]
	s_clause 0x7
	global_store_b8 v[0:1], v2, off
	global_store_b8 v[0:1], v4, off offset:256
	global_store_d16_hi_b8 v[0:1], v2, off offset:512
	global_store_b8 v[0:1], v5, off offset:768
	global_store_b8 v[0:1], v3, off offset:1024
	;; [unrolled: 1-line block ×3, first 2 shown]
	global_store_d16_hi_b8 v[0:1], v3, off offset:1536
	global_store_b8 v[0:1], v7, off offset:1792
	s_endpgm
	.section	.rodata,"a",@progbits
	.p2align	6, 0x0
	.amdhsa_kernel _Z6kernelI27subtract_right_partial_tileLj256ELj8ELb0EJPaPiS1_jEEvDpT3_
		.amdhsa_group_segment_fixed_size 512
		.amdhsa_private_segment_fixed_size 0
		.amdhsa_kernarg_size 28
		.amdhsa_user_sgpr_count 2
		.amdhsa_user_sgpr_dispatch_ptr 0
		.amdhsa_user_sgpr_queue_ptr 0
		.amdhsa_user_sgpr_kernarg_segment_ptr 1
		.amdhsa_user_sgpr_dispatch_id 0
		.amdhsa_user_sgpr_private_segment_size 0
		.amdhsa_wavefront_size32 1
		.amdhsa_uses_dynamic_stack 0
		.amdhsa_enable_private_segment 0
		.amdhsa_system_sgpr_workgroup_id_x 1
		.amdhsa_system_sgpr_workgroup_id_y 0
		.amdhsa_system_sgpr_workgroup_id_z 0
		.amdhsa_system_sgpr_workgroup_info 0
		.amdhsa_system_vgpr_workitem_id 0
		.amdhsa_next_free_vgpr 24
		.amdhsa_next_free_sgpr 12
		.amdhsa_reserve_vcc 1
		.amdhsa_float_round_mode_32 0
		.amdhsa_float_round_mode_16_64 0
		.amdhsa_float_denorm_mode_32 3
		.amdhsa_float_denorm_mode_16_64 3
		.amdhsa_fp16_overflow 0
		.amdhsa_workgroup_processor_mode 1
		.amdhsa_memory_ordered 1
		.amdhsa_forward_progress 1
		.amdhsa_inst_pref_size 14
		.amdhsa_round_robin_scheduling 0
		.amdhsa_exception_fp_ieee_invalid_op 0
		.amdhsa_exception_fp_denorm_src 0
		.amdhsa_exception_fp_ieee_div_zero 0
		.amdhsa_exception_fp_ieee_overflow 0
		.amdhsa_exception_fp_ieee_underflow 0
		.amdhsa_exception_fp_ieee_inexact 0
		.amdhsa_exception_int_div_zero 0
	.end_amdhsa_kernel
	.section	.text._Z6kernelI27subtract_right_partial_tileLj256ELj8ELb0EJPaPiS1_jEEvDpT3_,"axG",@progbits,_Z6kernelI27subtract_right_partial_tileLj256ELj8ELb0EJPaPiS1_jEEvDpT3_,comdat
.Lfunc_end195:
	.size	_Z6kernelI27subtract_right_partial_tileLj256ELj8ELb0EJPaPiS1_jEEvDpT3_, .Lfunc_end195-_Z6kernelI27subtract_right_partial_tileLj256ELj8ELb0EJPaPiS1_jEEvDpT3_
                                        ; -- End function
	.set _Z6kernelI27subtract_right_partial_tileLj256ELj8ELb0EJPaPiS1_jEEvDpT3_.num_vgpr, 24
	.set _Z6kernelI27subtract_right_partial_tileLj256ELj8ELb0EJPaPiS1_jEEvDpT3_.num_agpr, 0
	.set _Z6kernelI27subtract_right_partial_tileLj256ELj8ELb0EJPaPiS1_jEEvDpT3_.numbered_sgpr, 12
	.set _Z6kernelI27subtract_right_partial_tileLj256ELj8ELb0EJPaPiS1_jEEvDpT3_.num_named_barrier, 0
	.set _Z6kernelI27subtract_right_partial_tileLj256ELj8ELb0EJPaPiS1_jEEvDpT3_.private_seg_size, 0
	.set _Z6kernelI27subtract_right_partial_tileLj256ELj8ELb0EJPaPiS1_jEEvDpT3_.uses_vcc, 1
	.set _Z6kernelI27subtract_right_partial_tileLj256ELj8ELb0EJPaPiS1_jEEvDpT3_.uses_flat_scratch, 0
	.set _Z6kernelI27subtract_right_partial_tileLj256ELj8ELb0EJPaPiS1_jEEvDpT3_.has_dyn_sized_stack, 0
	.set _Z6kernelI27subtract_right_partial_tileLj256ELj8ELb0EJPaPiS1_jEEvDpT3_.has_recursion, 0
	.set _Z6kernelI27subtract_right_partial_tileLj256ELj8ELb0EJPaPiS1_jEEvDpT3_.has_indirect_call, 0
	.section	.AMDGPU.csdata,"",@progbits
; Kernel info:
; codeLenInByte = 1756
; TotalNumSgprs: 14
; NumVgprs: 24
; ScratchSize: 0
; MemoryBound: 0
; FloatMode: 240
; IeeeMode: 1
; LDSByteSize: 512 bytes/workgroup (compile time only)
; SGPRBlocks: 0
; VGPRBlocks: 2
; NumSGPRsForWavesPerEU: 14
; NumVGPRsForWavesPerEU: 24
; Occupancy: 16
; WaveLimiterHint : 1
; COMPUTE_PGM_RSRC2:SCRATCH_EN: 0
; COMPUTE_PGM_RSRC2:USER_SGPR: 2
; COMPUTE_PGM_RSRC2:TRAP_HANDLER: 0
; COMPUTE_PGM_RSRC2:TGID_X_EN: 1
; COMPUTE_PGM_RSRC2:TGID_Y_EN: 0
; COMPUTE_PGM_RSRC2:TGID_Z_EN: 0
; COMPUTE_PGM_RSRC2:TIDIG_COMP_CNT: 0
	.section	.text._Z6kernelI27subtract_right_partial_tileLj256ELj16ELb0EJPaPiS1_jEEvDpT3_,"axG",@progbits,_Z6kernelI27subtract_right_partial_tileLj256ELj16ELb0EJPaPiS1_jEEvDpT3_,comdat
	.protected	_Z6kernelI27subtract_right_partial_tileLj256ELj16ELb0EJPaPiS1_jEEvDpT3_ ; -- Begin function _Z6kernelI27subtract_right_partial_tileLj256ELj16ELb0EJPaPiS1_jEEvDpT3_
	.globl	_Z6kernelI27subtract_right_partial_tileLj256ELj16ELb0EJPaPiS1_jEEvDpT3_
	.p2align	8
	.type	_Z6kernelI27subtract_right_partial_tileLj256ELj16ELb0EJPaPiS1_jEEvDpT3_,@function
_Z6kernelI27subtract_right_partial_tileLj256ELj16ELb0EJPaPiS1_jEEvDpT3_: ; @_Z6kernelI27subtract_right_partial_tileLj256ELj16ELb0EJPaPiS1_jEEvDpT3_
; %bb.0:
	s_load_b128 s[4:7], s[0:1], 0x0
	s_lshl_b32 s8, ttmp9, 12
	s_mov_b32 s9, 0
	s_load_b96 s[0:2], s[0:1], 0x10
	s_mov_b32 s10, ttmp9
	s_mov_b32 s11, s9
	v_dual_mov_b32 v25, 0 :: v_dual_lshlrev_b32 v16, 4, v0
	v_dual_mov_b32 v24, 0 :: v_dual_mov_b32 v17, 0
	s_delay_alu instid0(VALU_DEP_2)
	v_or_b32_e32 v1, 1, v16
	v_or_b32_e32 v2, 2, v16
	v_or_b32_e32 v3, 3, v16
	v_or_b32_e32 v4, 4, v16
	v_or_b32_e32 v6, 6, v16
	v_or_b32_e32 v7, 7, v16
	v_or_b32_e32 v8, 8, v16
	v_or_b32_e32 v9, 9, v16
	s_wait_kmcnt 0x0
	s_add_nc_u64 s[4:5], s[4:5], s[8:9]
	v_or_b32_e32 v10, 10, v16
	s_clause 0xf
	global_load_u8 v18, v0, s[4:5] offset:256
	global_load_u8 v19, v0, s[4:5] offset:768
	;; [unrolled: 1-line block ×7, first 2 shown]
	global_load_u8 v27, v0, s[4:5]
	global_load_u8 v28, v0, s[4:5] offset:2304
	global_load_u8 v29, v0, s[4:5] offset:3584
	;; [unrolled: 1-line block ×8, first 2 shown]
	s_cvt_f32_u32 s3, s2
	s_lshl_b64 s[4:5], s[10:11], 2
	s_sub_co_i32 s10, 0, s2
	s_add_nc_u64 s[4:5], s[6:7], s[4:5]
	v_rcp_iflag_f32_e32 v5, s3
	v_or_b32_e32 v11, 11, v16
	v_or_b32_e32 v12, 12, v16
	v_or_b32_e32 v13, 13, v16
	v_or_b32_e32 v14, 14, v16
	v_or_b32_e32 v15, 15, v16
	s_delay_alu instid0(TRANS32_DEP_1) | instskip(SKIP_4) | instid1(SALU_CYCLE_2)
	v_readfirstlane_b32 s3, v5
	v_or_b32_e32 v5, 5, v16
	v_add_nc_u32_e32 v16, 16, v16
	s_mul_f32 s3, s3, 0x4f7ffffe
	s_wait_alu 0xfffe
	s_cvt_u32_f32 s3, s3
	s_wait_alu 0xfffe
	s_delay_alu instid0(SALU_CYCLE_2) | instskip(NEXT) | instid1(SALU_CYCLE_1)
	s_mul_i32 s10, s10, s3
	s_mul_hi_u32 s10, s3, s10
	s_delay_alu instid0(SALU_CYCLE_1) | instskip(SKIP_2) | instid1(SALU_CYCLE_1)
	s_add_co_i32 s3, s3, s10
	s_wait_alu 0xfffe
	s_lshr_b32 s10, s3, 20
	s_mul_i32 s3, s10, s2
	s_add_co_i32 s7, s10, 1
	s_wait_alu 0xfffe
	s_sub_co_i32 s6, 0x1000, s3
	s_load_b32 s3, s[4:5], 0x0
	s_sub_co_i32 s11, s6, s2
	s_cmp_ge_u32 s6, s2
	s_cselect_b32 s4, s7, s10
	s_cselect_b32 s5, s11, s6
	s_add_co_i32 s6, s4, 1
	s_cmp_ge_u32 s5, s2
	s_cselect_b32 s4, s6, s4
	s_delay_alu instid0(SALU_CYCLE_1)
	s_add_co_i32 s4, s4, 1
	s_wait_loadcnt 0xb
	v_perm_b32 v21, v22, v21, 0xc0c0004
	s_wait_loadcnt 0xa
	v_perm_b32 v20, v23, v20, 0xc0c0004
	;; [unrolled: 2-line block ×8, first 2 shown]
	v_lshl_or_b32 v18, v19, 16, v18
	v_lshl_or_b32 v19, v21, 16, v20
	;; [unrolled: 1-line block ×3, first 2 shown]
	v_mov_b32_e32 v20, 0
	v_lshl_or_b32 v23, v27, 16, v26
	s_branch .LBB196_2
.LBB196_1:                              ;   in Loop: Header=BB196_2 Depth=1
	s_or_b32 exec_lo, exec_lo, s5
	s_delay_alu instid0(VALU_DEP_1)
	v_lshrrev_b32_e32 v40, 24, v17
	v_lshrrev_b32_e32 v43, 16, v17
	;; [unrolled: 1-line block ×3, first 2 shown]
	v_lshrrev_b16 v35, 8, v19
	v_lshrrev_b16 v36, 8, v23
	v_add_nc_u16 v32, v40, v32
	v_add_nc_u16 v29, v43, v29
	v_lshrrev_b16 v41, 8, v24
	v_lshrrev_b16 v40, 8, v20
	v_add_nc_u16 v30, v45, v30
	v_lshlrev_b16 v32, 8, v32
	v_and_b32_e32 v29, 0xff, v29
	v_lshrrev_b16 v34, 8, v18
	v_lshrrev_b16 v31, 8, v21
	;; [unrolled: 1-line block ×4, first 2 shown]
	v_lshrrev_b32_e32 v43, 24, v20
	v_add_nc_u16 v36, v40, v36
	v_add_nc_u16 v23, v20, v23
	v_and_b32_e32 v40, 0xff, v30
	v_or_b32_e32 v30, v29, v32
	v_add_nc_u16 v32, v41, v35
	v_add_nc_u16 v19, v24, v19
	v_lshrrev_b32_e32 v38, 16, v25
	v_lshrrev_b32_e32 v39, 24, v25
	v_add_nc_u16 v33, v43, v33
	v_lshlrev_b16 v36, 8, v36
	v_and_b32_e32 v23, 0xff, v23
	v_add_nc_u16 v31, v44, v31
	v_add_nc_u16 v21, v17, v21
	v_lshrrev_b32_e32 v43, 24, v24
	v_lshlrev_b16 v32, 8, v32
	v_and_b32_e32 v19, 0xff, v19
	v_add_nc_u16 v34, v37, v34
	v_add_nc_u16 v18, v25, v18
	v_lshrrev_b32_e32 v42, 16, v24
	v_or_b32_e32 v23, v23, v36
	v_lshlrev_b16 v36, 8, v31
	v_and_b32_e32 v21, 0xff, v21
	v_add_nc_u16 v28, v43, v28
	v_or_b32_e32 v19, v19, v32
	v_add_nc_u16 v26, v39, v26
	v_add_nc_u16 v32, v38, v22
	v_lshlrev_b16 v34, 8, v34
	v_and_b32_e32 v18, 0xff, v18
	v_or_b32_e32 v21, v21, v36
	v_add_nc_u16 v35, v42, v27
	v_lshlrev_b16 v28, 8, v28
	v_and_b32_e32 v22, 0xffff, v19
	v_lshlrev_b16 v36, 8, v26
	v_and_b32_e32 v26, 0xff, v32
	v_or_b32_e32 v18, v18, v34
	v_lshlrev_b16 v33, 8, v33
	v_and_b32_e32 v29, 0xffff, v23
	v_and_b32_e32 v35, 0xff, v35
	v_lshrrev_b32_e32 v37, 8, v28
	v_lshrrev_b32_e32 v34, 8, v22
	v_or_b32_e32 v32, v26, v36
	v_and_b32_e32 v26, 0xffff, v18
	v_or_b32_e32 v31, v40, v33
	v_or_b32_e32 v28, v35, v28
	v_lshlrev_b16 v35, 8, v37
	v_lshrrev_b32_e32 v37, 8, v29
	v_lshlrev_b16 v34, 8, v34
	v_lshrrev_b32_e32 v33, 8, v33
	v_lshrrev_b32_e32 v40, 8, v26
	v_and_b32_e32 v18, 0xff, v18
	v_lshrrev_b32_e32 v36, 8, v36
	v_lshrrev_b32_e32 v34, 8, v34
	v_lshlrev_b16 v33, 8, v33
	v_lshlrev_b16 v40, 8, v40
	;; [unrolled: 1-line block ×3, first 2 shown]
	v_and_b32_e32 v27, 0xffff, v21
	v_lshrrev_b32_e32 v35, 8, v35
	v_lshrrev_b32_e32 v33, 8, v33
	v_or_b32_e32 v18, v18, v40
	v_and_b32_e32 v40, 0xff, v32
	v_lshlrev_b16 v36, 8, v36
	v_and_b32_e32 v19, 0xff, v19
	v_lshlrev_b16 v34, 8, v34
	v_lshrrev_b32_e32 v37, 8, v37
	v_lshrrev_b32_e32 v38, 8, v30
	;; [unrolled: 1-line block ×3, first 2 shown]
	v_or_b32_e32 v36, v40, v36
	v_or_b32_e32 v19, v19, v34
	v_and_b32_e32 v34, 0xff, v28
	v_lshlrev_b16 v35, 8, v35
	v_and_b32_e32 v23, 0xff, v23
	v_lshlrev_b16 v37, 8, v37
	;; [unrolled: 2-line block ×3, first 2 shown]
	v_lshlrev_b16 v38, 8, v38
	v_lshlrev_b16 v39, 8, v39
	v_or_b32_e32 v34, v34, v35
	v_or_b32_e32 v23, v23, v37
	v_or_b32_e32 v33, v40, v33
	v_and_b32_e32 v18, 0xffff, v18
	v_lshlrev_b32_e32 v35, 16, v36
	v_and_b32_e32 v19, 0xffff, v19
	v_lshlrev_b32_e32 v34, 16, v34
	v_perm_b32 v36, v30, v38, 0xc0c0104
	v_perm_b32 v21, v21, v39, 0xc0c0104
	v_and_b32_e32 v23, 0xffff, v23
	v_lshlrev_b32_e32 v33, 16, v33
	s_add_co_i32 s3, s4, s3
	v_or_b32_e32 v18, v18, v35
	v_or_b32_e32 v19, v19, v34
	v_lshl_or_b32 v21, v36, 16, v21
	v_or_b32_e32 v23, v23, v33
	s_add_co_i32 s2, s2, -1
	s_wait_alu 0xfffe
	s_and_b32 s3, s3, 0xfff
	s_cmp_lg_u32 s2, 0
	s_wait_loadcnt 0x0
	s_barrier_signal -1
	s_barrier_wait -1
	global_inv scope:SCOPE_SE
	s_cbranch_scc0 .LBB196_4
.LBB196_2:                              ; =>This Inner Loop Header: Depth=1
	v_lshrrev_b32_e32 v26, 8, v18
	v_lshrrev_b32_e32 v28, 8, v19
	;; [unrolled: 1-line block ×3, first 2 shown]
	v_perm_b32 v31, v18, v25, 0xc0c0104
	s_wait_kmcnt 0x0
	s_wait_alu 0xfffe
	v_cmp_gt_u32_e32 vcc_lo, s3, v1
	v_sub_nc_u16 v27, v18, v26
	v_sub_nc_u16 v29, v19, v28
	v_and_b32_e32 v30, 0xff, v19
	v_sub_nc_u16 v26, v26, v22
	v_lshrrev_b32_e32 v34, 8, v21
	v_perm_b32 v27, v27, v25, 0xc0c0104
	v_and_b32_e32 v32, 0xffffff00, v24
	v_and_b32_e32 v36, 0xffffff00, v20
	v_lshlrev_b16 v26, 8, v26
	v_sub_nc_u16 v38, v21, v34
	s_wait_alu 0xfffd
	v_cndmask_b32_e32 v31, v31, v27, vcc_lo
	v_or_b32_e32 v27, v30, v32
	v_cmp_gt_u32_e32 vcc_lo, s3, v5
	v_and_b32_e32 v29, 0xff, v29
	v_perm_b32 v38, v38, v17, 0xc0c0104
	v_and_b32_e32 v30, 0xff, v31
	v_and_or_b32 v25, 0xffff0000, v25, v31
	v_and_b32_e32 v20, 0xffff0000, v20
	v_or_b32_e32 v29, v29, v32
	v_and_b32_e32 v32, 0xffff, v27
	v_or_b32_e32 v26, v30, v26
	v_lshrrev_b32_e32 v27, 16, v19
	s_mov_b32 s5, exec_lo
	v_and_b32_e32 v29, 0xffff, v29
	ds_store_b8 v0, v18 offset:256
	v_and_b32_e32 v31, 0xffff, v26
	v_and_b32_e32 v24, 0xffff0000, v24
	v_sub_nc_u16 v28, v28, v27
	v_lshrrev_b32_e32 v26, 24, v18
	v_and_b32_e32 v35, 0xff, v27
	s_wait_dscnt 0x0
	v_or_b32_e32 v30, v32, v24
	v_or_b32_e32 v24, v29, v24
	v_perm_b32 v29, v25, v18, 0xc0c0104
	v_lshlrev_b16 v28, 8, v28
	s_barrier_signal -1
	s_barrier_wait -1
	s_wait_alu 0xfffd
	v_cndmask_b32_e32 v24, v30, v24, vcc_lo
	v_cmp_gt_u32_e32 vcc_lo, s3, v2
	global_inv scope:SCOPE_SE
	s_wait_alu 0xfffd
	v_dual_cndmask_b32 v29, v29, v31 :: v_dual_and_b32 v30, 0xff, v24
	v_and_b32_e32 v31, 0xffffff00, v19
	v_and_b32_e32 v24, 0xffff0000, v24
	v_cmp_gt_u32_e32 vcc_lo, s3, v3
	s_delay_alu instid0(VALU_DEP_4) | instskip(SKIP_3) | instid1(VALU_DEP_4)
	v_or_b32_e32 v28, v30, v28
	v_and_or_b32 v25, 0xffff0000, v25, v29
	v_sub_nc_u16 v29, v22, v26
	v_or_b32_e32 v30, v30, v31
	v_and_b32_e32 v32, 0xffff, v28
	s_delay_alu instid0(VALU_DEP_4) | instskip(NEXT) | instid1(VALU_DEP_4)
	v_perm_b32 v31, v18, v25, 0xc0c0306
	v_perm_b32 v29, v29, v25, 0xc0c0304
	s_delay_alu instid0(VALU_DEP_4) | instskip(SKIP_2) | instid1(VALU_DEP_3)
	v_and_b32_e32 v30, 0xffff, v30
	v_lshrrev_b32_e32 v28, 24, v19
	s_wait_alu 0xfffd
	v_cndmask_b32_e32 v29, v31, v29, vcc_lo
	v_or_b32_e32 v31, v32, v24
	v_or_b32_e32 v24, v30, v24
	v_cmp_gt_u32_e32 vcc_lo, s3, v6
	v_sub_nc_u16 v30, v26, v19
	v_lshlrev_b32_e32 v33, 16, v29
	v_and_b32_e32 v29, 0xff, v29
	v_lshrrev_b32_e32 v32, 8, v23
	s_wait_alu 0xfffd
	v_cndmask_b32_e32 v24, v24, v31, vcc_lo
	v_lshlrev_b16 v30, 8, v30
	v_and_or_b32 v25, 0xffff, v25, v33
	v_sub_nc_u16 v33, v27, v28
	v_cmp_gt_u32_e32 vcc_lo, s3, v4
	v_lshrrev_b32_e32 v31, 16, v24
	v_or_b32_e32 v29, v29, v30
	v_perm_b32 v30, v25, v18, 0xc0c0306
	v_and_b32_e32 v33, 0xff, v33
	v_and_b32_e32 v24, 0xffff, v24
	;; [unrolled: 1-line block ×3, first 2 shown]
	v_sub_nc_u16 v37, v23, v32
	s_wait_alu 0xfffd
	v_cndmask_b32_e32 v29, v30, v29, vcc_lo
	v_cmp_gt_u32_e32 vcc_lo, s3, v9
	v_or_b32_e32 v30, v35, v31
	v_or_b32_e32 v31, v33, v31
	s_delay_alu instid0(VALU_DEP_4) | instskip(SKIP_1) | instid1(VALU_DEP_4)
	v_lshlrev_b32_e32 v29, 16, v29
	v_and_b32_e32 v33, 0xffffff00, v27
	v_lshlrev_b32_e32 v30, 16, v30
	s_delay_alu instid0(VALU_DEP_4) | instskip(NEXT) | instid1(VALU_DEP_4)
	v_lshlrev_b32_e32 v35, 16, v31
	v_and_or_b32 v31, 0xffff, v25, v29
	v_lshrrev_b32_e32 v29, 16, v21
	s_delay_alu instid0(VALU_DEP_4) | instskip(NEXT) | instid1(VALU_DEP_4)
	v_or_b32_e32 v25, v24, v30
	v_or_b32_e32 v24, v24, v35
	v_and_b32_e32 v30, 0xff, v37
	v_and_b32_e32 v35, 0xff, v23
	v_perm_b32 v37, v21, v17, 0xc0c0104
	v_sub_nc_u16 v34, v34, v29
	s_delay_alu instid0(VALU_DEP_4) | instskip(NEXT) | instid1(VALU_DEP_4)
	v_or_b32_e32 v30, v30, v36
	v_or_b32_e32 v35, v35, v36
	s_wait_alu 0xfffd
	v_cndmask_b32_e32 v36, v37, v38, vcc_lo
	v_cmp_gt_u32_e32 vcc_lo, s3, v7
	v_lshlrev_b16 v34, 8, v34
	v_and_b32_e32 v30, 0xffff, v30
	v_and_b32_e32 v35, 0xffff, v35
	v_and_or_b32 v17, 0xffff0000, v17, v36
	s_wait_alu 0xfffd
	v_cndmask_b32_e32 v24, v25, v24, vcc_lo
	v_and_b32_e32 v25, 0xff, v36
	v_or_b32_e32 v37, v30, v20
	v_or_b32_e32 v20, v35, v20
	v_lshrrev_b32_e32 v30, 16, v23
	v_cmp_gt_u32_e32 vcc_lo, s3, v13
	v_or_b32_e32 v25, v25, v34
	v_perm_b32 v34, v17, v21, 0xc0c0104
	v_and_b32_e32 v35, 0xffffff00, v23
	v_sub_nc_u16 v32, v32, v30
	s_wait_alu 0xfffd
	v_cndmask_b32_e32 v20, v20, v37, vcc_lo
	v_and_b32_e32 v25, 0xffff, v25
	v_cmp_gt_u32_e32 vcc_lo, s3, v10
	v_and_b32_e32 v40, 0xff, v30
	v_lshlrev_b16 v37, 8, v32
	v_and_b32_e32 v36, 0xff, v20
	v_lshrrev_b32_e32 v32, 24, v21
	s_wait_alu 0xfffd
	v_cndmask_b32_e32 v25, v34, v25, vcc_lo
	v_lshrrev_b32_e32 v34, 16, v24
	v_and_b32_e32 v20, 0xffff0000, v20
	v_or_b32_e32 v37, v36, v37
	v_or_b32_e32 v35, v36, v35
	v_and_or_b32 v17, 0xffff0000, v17, v25
	v_sub_nc_u16 v25, v29, v32
	v_cmp_gt_u32_e32 vcc_lo, s3, v11
	v_and_b32_e32 v36, 0xffff, v37
	v_and_b32_e32 v35, 0xffff, v35
	v_perm_b32 v37, v21, v17, 0xc0c0306
	v_perm_b32 v25, v25, v17, 0xc0c0304
	v_and_b32_e32 v34, 0xff, v34
	v_or_b32_e32 v36, v36, v20
	v_or_b32_e32 v20, v35, v20
	s_wait_alu 0xfffd
	v_dual_cndmask_b32 v25, v37, v25 :: v_dual_and_b32 v24, 0xffff, v24
	v_cmp_gt_u32_e32 vcc_lo, s3, v14
	v_or_b32_e32 v35, v34, v33
	v_lshrrev_b32_e32 v33, 24, v23
	v_sub_nc_u16 v37, v32, v23
	s_wait_alu 0xfffd
	v_cndmask_b32_e32 v20, v20, v36, vcc_lo
	v_lshlrev_b32_e32 v36, 16, v25
	v_sub_nc_u16 v39, v30, v33
	v_and_b32_e32 v25, 0xff, v25
	v_cmp_gt_u32_e32 vcc_lo, s3, v12
	v_lshrrev_b32_e32 v38, 16, v20
	v_and_or_b32 v17, 0xffff, v17, v36
	v_lshlrev_b16 v36, 8, v37
	v_sub_nc_u16 v37, v28, v21
	v_and_b32_e32 v39, 0xff, v39
	v_and_b32_e32 v38, 0xffffff00, v38
	v_perm_b32 v41, v17, v21, 0xc0c0306
	v_or_b32_e32 v25, v25, v36
	v_lshlrev_b16 v36, 8, v37
	v_and_b32_e32 v20, 0xffff, v20
	v_or_b32_e32 v37, v39, v38
	v_or_b32_e32 v38, v40, v38
	s_wait_alu 0xfffd
	v_cndmask_b32_e32 v25, v41, v25, vcc_lo
	v_or_b32_e32 v34, v34, v36
	v_lshlrev_b32_e32 v35, 16, v35
	v_lshlrev_b32_e32 v37, 16, v37
	;; [unrolled: 1-line block ×5, first 2 shown]
	v_cmp_gt_u32_e32 vcc_lo, s3, v15
	v_or_b32_e32 v35, v24, v35
	v_or_b32_e32 v36, v20, v36
	;; [unrolled: 1-line block ×4, first 2 shown]
	v_and_or_b32 v34, 0xffff, v17, v25
	v_perm_b32 v25, v31, v31, 0x3020104
	s_wait_alu 0xfffd
	v_cndmask_b32_e32 v20, v36, v20, vcc_lo
	v_cmp_gt_u32_e32 vcc_lo, s3, v8
	v_perm_b32 v17, v34, v34, 0x3020104
	s_delay_alu instid0(VALU_DEP_3)
	v_perm_b32 v20, v20, v23, 0x3060504
	s_wait_alu 0xfffd
	v_cndmask_b32_e32 v24, v35, v24, vcc_lo
	v_cmpx_gt_u32_e64 s3, v16
	s_cbranch_execz .LBB196_1
; %bb.3:                                ;   in Loop: Header=BB196_2 Depth=1
	ds_load_u8 v17, v0 offset:257
	v_lshrrev_b32_e32 v25, 8, v20
	v_lshrrev_b32_e32 v35, 16, v20
	v_and_b32_e32 v20, 0xff, v20
	s_delay_alu instid0(VALU_DEP_3) | instskip(NEXT) | instid1(VALU_DEP_3)
	v_lshlrev_b16 v25, 8, v25
	v_and_b32_e32 v35, 0xff, v35
	s_delay_alu instid0(VALU_DEP_2) | instskip(NEXT) | instid1(VALU_DEP_1)
	v_or_b32_e32 v20, v20, v25
	v_dual_mov_b32 v25, v31 :: v_dual_and_b32 v20, 0xffff, v20
	s_wait_dscnt 0x0
	v_sub_nc_u16 v17, v33, v17
	s_delay_alu instid0(VALU_DEP_1) | instskip(NEXT) | instid1(VALU_DEP_1)
	v_lshlrev_b16 v17, 8, v17
	v_or_b32_e32 v17, v35, v17
	s_delay_alu instid0(VALU_DEP_1) | instskip(NEXT) | instid1(VALU_DEP_1)
	v_lshlrev_b32_e32 v17, 16, v17
	v_or_b32_e32 v20, v20, v17
	v_mov_b32_e32 v17, v34
	s_branch .LBB196_1
.LBB196_4:
	v_lshlrev_b32_e32 v4, 16, v32
	v_lshlrev_b32_e32 v1, 16, v31
	;; [unrolled: 1-line block ×4, first 2 shown]
	s_add_nc_u64 s[0:1], s[0:1], s[8:9]
	v_or_b32_e32 v4, v26, v4
	v_add_co_u32 v0, s0, s0, v0
	v_or_b32_e32 v5, v29, v1
	v_or_b32_e32 v2, v27, v2
	;; [unrolled: 1-line block ×3, first 2 shown]
	s_wait_alu 0xf1ff
	v_add_co_ci_u32_e64 v1, null, s1, 0, s0
	v_lshrrev_b32_e32 v6, 8, v4
	v_lshrrev_b32_e32 v7, 24, v4
	;; [unrolled: 1-line block ×4, first 2 shown]
	s_clause 0x7
	global_store_b8 v[0:1], v4, off
	global_store_b8 v[0:1], v6, off offset:256
	global_store_d16_hi_b8 v[0:1], v4, off offset:512
	global_store_b8 v[0:1], v7, off offset:768
	global_store_b8 v[0:1], v3, off offset:1024
	;; [unrolled: 1-line block ×3, first 2 shown]
	global_store_d16_hi_b8 v[0:1], v3, off offset:1536
	global_store_b8 v[0:1], v9, off offset:1792
	v_lshrrev_b32_e32 v3, 8, v2
	v_lshrrev_b32_e32 v4, 24, v2
	;; [unrolled: 1-line block ×4, first 2 shown]
	s_clause 0x7
	global_store_b8 v[0:1], v2, off offset:2048
	global_store_b8 v[0:1], v3, off offset:2304
	global_store_d16_hi_b8 v[0:1], v2, off offset:2560
	global_store_b8 v[0:1], v4, off offset:2816
	global_store_b8 v[0:1], v5, off offset:3072
	;; [unrolled: 1-line block ×3, first 2 shown]
	global_store_d16_hi_b8 v[0:1], v5, off offset:3584
	global_store_b8 v[0:1], v7, off offset:3840
	s_endpgm
	.section	.rodata,"a",@progbits
	.p2align	6, 0x0
	.amdhsa_kernel _Z6kernelI27subtract_right_partial_tileLj256ELj16ELb0EJPaPiS1_jEEvDpT3_
		.amdhsa_group_segment_fixed_size 512
		.amdhsa_private_segment_fixed_size 0
		.amdhsa_kernarg_size 28
		.amdhsa_user_sgpr_count 2
		.amdhsa_user_sgpr_dispatch_ptr 0
		.amdhsa_user_sgpr_queue_ptr 0
		.amdhsa_user_sgpr_kernarg_segment_ptr 1
		.amdhsa_user_sgpr_dispatch_id 0
		.amdhsa_user_sgpr_private_segment_size 0
		.amdhsa_wavefront_size32 1
		.amdhsa_uses_dynamic_stack 0
		.amdhsa_enable_private_segment 0
		.amdhsa_system_sgpr_workgroup_id_x 1
		.amdhsa_system_sgpr_workgroup_id_y 0
		.amdhsa_system_sgpr_workgroup_id_z 0
		.amdhsa_system_sgpr_workgroup_info 0
		.amdhsa_system_vgpr_workitem_id 0
		.amdhsa_next_free_vgpr 46
		.amdhsa_next_free_sgpr 12
		.amdhsa_reserve_vcc 1
		.amdhsa_float_round_mode_32 0
		.amdhsa_float_round_mode_16_64 0
		.amdhsa_float_denorm_mode_32 3
		.amdhsa_float_denorm_mode_16_64 3
		.amdhsa_fp16_overflow 0
		.amdhsa_workgroup_processor_mode 1
		.amdhsa_memory_ordered 1
		.amdhsa_forward_progress 1
		.amdhsa_inst_pref_size 24
		.amdhsa_round_robin_scheduling 0
		.amdhsa_exception_fp_ieee_invalid_op 0
		.amdhsa_exception_fp_denorm_src 0
		.amdhsa_exception_fp_ieee_div_zero 0
		.amdhsa_exception_fp_ieee_overflow 0
		.amdhsa_exception_fp_ieee_underflow 0
		.amdhsa_exception_fp_ieee_inexact 0
		.amdhsa_exception_int_div_zero 0
	.end_amdhsa_kernel
	.section	.text._Z6kernelI27subtract_right_partial_tileLj256ELj16ELb0EJPaPiS1_jEEvDpT3_,"axG",@progbits,_Z6kernelI27subtract_right_partial_tileLj256ELj16ELb0EJPaPiS1_jEEvDpT3_,comdat
.Lfunc_end196:
	.size	_Z6kernelI27subtract_right_partial_tileLj256ELj16ELb0EJPaPiS1_jEEvDpT3_, .Lfunc_end196-_Z6kernelI27subtract_right_partial_tileLj256ELj16ELb0EJPaPiS1_jEEvDpT3_
                                        ; -- End function
	.set _Z6kernelI27subtract_right_partial_tileLj256ELj16ELb0EJPaPiS1_jEEvDpT3_.num_vgpr, 46
	.set _Z6kernelI27subtract_right_partial_tileLj256ELj16ELb0EJPaPiS1_jEEvDpT3_.num_agpr, 0
	.set _Z6kernelI27subtract_right_partial_tileLj256ELj16ELb0EJPaPiS1_jEEvDpT3_.numbered_sgpr, 12
	.set _Z6kernelI27subtract_right_partial_tileLj256ELj16ELb0EJPaPiS1_jEEvDpT3_.num_named_barrier, 0
	.set _Z6kernelI27subtract_right_partial_tileLj256ELj16ELb0EJPaPiS1_jEEvDpT3_.private_seg_size, 0
	.set _Z6kernelI27subtract_right_partial_tileLj256ELj16ELb0EJPaPiS1_jEEvDpT3_.uses_vcc, 1
	.set _Z6kernelI27subtract_right_partial_tileLj256ELj16ELb0EJPaPiS1_jEEvDpT3_.uses_flat_scratch, 0
	.set _Z6kernelI27subtract_right_partial_tileLj256ELj16ELb0EJPaPiS1_jEEvDpT3_.has_dyn_sized_stack, 0
	.set _Z6kernelI27subtract_right_partial_tileLj256ELj16ELb0EJPaPiS1_jEEvDpT3_.has_recursion, 0
	.set _Z6kernelI27subtract_right_partial_tileLj256ELj16ELb0EJPaPiS1_jEEvDpT3_.has_indirect_call, 0
	.section	.AMDGPU.csdata,"",@progbits
; Kernel info:
; codeLenInByte = 3064
; TotalNumSgprs: 14
; NumVgprs: 46
; ScratchSize: 0
; MemoryBound: 0
; FloatMode: 240
; IeeeMode: 1
; LDSByteSize: 512 bytes/workgroup (compile time only)
; SGPRBlocks: 0
; VGPRBlocks: 5
; NumSGPRsForWavesPerEU: 14
; NumVGPRsForWavesPerEU: 46
; Occupancy: 16
; WaveLimiterHint : 1
; COMPUTE_PGM_RSRC2:SCRATCH_EN: 0
; COMPUTE_PGM_RSRC2:USER_SGPR: 2
; COMPUTE_PGM_RSRC2:TRAP_HANDLER: 0
; COMPUTE_PGM_RSRC2:TGID_X_EN: 1
; COMPUTE_PGM_RSRC2:TGID_Y_EN: 0
; COMPUTE_PGM_RSRC2:TGID_Z_EN: 0
; COMPUTE_PGM_RSRC2:TIDIG_COMP_CNT: 0
	.section	.text._Z6kernelI27subtract_right_partial_tileLj256ELj32ELb0EJPaPiS1_jEEvDpT3_,"axG",@progbits,_Z6kernelI27subtract_right_partial_tileLj256ELj32ELb0EJPaPiS1_jEEvDpT3_,comdat
	.protected	_Z6kernelI27subtract_right_partial_tileLj256ELj32ELb0EJPaPiS1_jEEvDpT3_ ; -- Begin function _Z6kernelI27subtract_right_partial_tileLj256ELj32ELb0EJPaPiS1_jEEvDpT3_
	.globl	_Z6kernelI27subtract_right_partial_tileLj256ELj32ELb0EJPaPiS1_jEEvDpT3_
	.p2align	8
	.type	_Z6kernelI27subtract_right_partial_tileLj256ELj32ELb0EJPaPiS1_jEEvDpT3_,@function
_Z6kernelI27subtract_right_partial_tileLj256ELj32ELb0EJPaPiS1_jEEvDpT3_: ; @_Z6kernelI27subtract_right_partial_tileLj256ELj32ELb0EJPaPiS1_jEEvDpT3_
; %bb.0:
	s_load_b128 s[4:7], s[0:1], 0x0
	s_lshl_b32 s8, ttmp9, 13
	s_mov_b32 s9, 0
	s_load_b96 s[0:2], s[0:1], 0x10
	s_mov_b32 s10, ttmp9
	s_mov_b32 s11, s9
	v_lshlrev_b32_e32 v40, 5, v0
	s_delay_alu instid0(VALU_DEP_1)
	v_or_b32_e32 v9, 1, v40
	v_or_b32_e32 v10, 2, v40
	;; [unrolled: 1-line block ×9, first 2 shown]
	s_wait_kmcnt 0x0
	s_add_nc_u64 s[4:5], s[4:5], s[8:9]
	v_or_b32_e32 v18, 10, v40
	s_clause 0x1f
	global_load_u8 v1, v0, s[4:5] offset:256
	global_load_u8 v2, v0, s[4:5] offset:768
	;; [unrolled: 1-line block ×7, first 2 shown]
	global_load_u8 v8, v0, s[4:5]
	global_load_u8 v41, v0, s[4:5] offset:2304
	global_load_u8 v42, v0, s[4:5] offset:2816
	;; [unrolled: 1-line block ×24, first 2 shown]
	s_cvt_f32_u32 s3, s2
	s_lshl_b64 s[4:5], s[10:11], 2
	s_sub_co_i32 s10, 0, s2
	s_add_nc_u64 s[4:5], s[6:7], s[4:5]
	v_rcp_iflag_f32_e32 v29, s3
	s_load_b32 s4, s[4:5], 0x0
	v_or_b32_e32 v19, 11, v40
	v_or_b32_e32 v20, 12, v40
	;; [unrolled: 1-line block ×8, first 2 shown]
	v_readfirstlane_b32 s3, v29
	v_or_b32_e32 v27, 19, v40
	v_or_b32_e32 v28, 20, v40
	;; [unrolled: 1-line block ×4, first 2 shown]
	s_mul_f32 s3, s3, 0x4f7ffffe
	v_or_b32_e32 v31, 23, v40
	v_or_b32_e32 v32, 24, v40
	;; [unrolled: 1-line block ×3, first 2 shown]
	s_wait_alu 0xfffe
	s_cvt_u32_f32 s3, s3
	v_or_b32_e32 v34, 26, v40
	v_or_b32_e32 v35, 27, v40
	;; [unrolled: 1-line block ×3, first 2 shown]
	s_wait_alu 0xfffe
	s_mul_i32 s10, s10, s3
	v_or_b32_e32 v37, 29, v40
	s_mul_hi_u32 s10, s3, s10
	v_or_b32_e32 v38, 30, v40
	s_add_co_i32 s3, s3, s10
	v_or_b32_e32 v39, 31, v40
	s_wait_alu 0xfffe
	s_lshr_b32 s3, s3, 19
	v_add_nc_u32_e32 v40, 32, v40
	s_wait_alu 0xfffe
	s_mul_i32 s10, s3, s2
	s_add_co_i32 s7, s3, 1
	s_sub_co_i32 s6, 0x2000, s10
	s_delay_alu instid0(SALU_CYCLE_1)
	s_sub_co_i32 s10, s6, s2
	s_cmp_ge_u32 s6, s2
	s_cselect_b32 s3, s7, s3
	s_cselect_b32 s5, s10, s6
	s_wait_alu 0xfffe
	s_add_co_i32 s6, s3, 1
	s_cmp_ge_u32 s5, s2
	s_cselect_b32 s3, s6, s3
	s_wait_alu 0xfffe
	s_add_co_i32 s3, s3, 1
	s_wait_loadcnt 0x1b
	v_perm_b32 v4, v5, v4, 0xc0c0004
	s_wait_loadcnt 0x1a
	v_perm_b32 v6, v6, v3, 0xc0c0004
	;; [unrolled: 2-line block ×4, first 2 shown]
	v_lshl_or_b32 v4, v4, 16, v6
	s_delay_alu instid0(VALU_DEP_2)
	v_lshl_or_b32 v3, v2, 16, v1
	s_wait_loadcnt 0x12
	v_perm_b32 v8, v46, v43, 0xc0c0004
	s_wait_loadcnt 0x11
	v_perm_b32 v7, v47, v42, 0xc0c0004
	;; [unrolled: 2-line block ×3, first 2 shown]
	v_perm_b32 v41, v45, v44, 0xc0c0004
	s_wait_loadcnt 0xb
	v_perm_b32 v45, v53, v52, 0xc0c0004
	s_wait_loadcnt 0xa
	;; [unrolled: 2-line block ×4, first 2 shown]
	v_perm_b32 v42, v56, v49, 0xc0c0004
	v_lshl_or_b32 v1, v7, 16, v5
	v_lshl_or_b32 v2, v41, 16, v8
	;; [unrolled: 1-line block ×3, first 2 shown]
	s_wait_loadcnt 0x3
	v_perm_b32 v46, v61, v57, 0xc0c0004
	s_wait_loadcnt 0x2
	v_perm_b32 v47, v60, v62, 0xc0c0004
	;; [unrolled: 2-line block ×4, first 2 shown]
	v_lshl_or_b32 v7, v43, 16, v42
	v_lshl_or_b32 v5, v47, 16, v46
	s_delay_alu instid0(VALU_DEP_3)
	v_lshl_or_b32 v6, v49, 16, v48
	s_branch .LBB197_2
.LBB197_1:                              ;   in Loop: Header=BB197_2 Depth=1
	s_or_b32 exec_lo, exec_lo, s5
	v_lshrrev_b32_e32 v46, 8, v3
	v_cmp_gt_u32_e32 vcc_lo, s4, v9
	v_lshrrev_b32_e32 v52, 8, v1
	v_lshrrev_b32_e32 v47, 16, v3
	v_lshrrev_b64 v[43:44], 24, v[3:4]
	v_lshrrev_b64 v[54:55], 24, v[1:2]
	s_wait_alu 0xfffd
	v_cndmask_b32_e32 v45, 0, v46, vcc_lo
	v_cmp_gt_u32_e32 vcc_lo, s4, v10
	v_lshrrev_b32_e32 v56, 8, v2
	v_lshrrev_b32_e32 v48, 8, v4
	;; [unrolled: 1-line block ×3, first 2 shown]
	v_sub_nc_u16 v44, v3, v45
	s_wait_alu 0xfffd
	v_cndmask_b32_e32 v45, 0, v47, vcc_lo
	v_cmp_gt_u32_e32 vcc_lo, s4, v11
	v_lshrrev_b32_e32 v49, 16, v4
	v_lshrrev_b64 v[62:63], 24, v[7:8]
	v_lshrrev_b32_e32 v60, 8, v7
	v_lshrrev_b32_e32 v50, 24, v4
	s_wait_alu 0xfffd
	v_cndmask_b32_e32 v51, 0, v43, vcc_lo
	v_cmp_gt_u32_e32 vcc_lo, s4, v12
	v_lshrrev_b32_e32 v64, 8, v8
	v_sub_nc_u16 v67, v46, v45
	v_lshrrev_b64 v[70:71], 24, v[5:6]
	v_lshrrev_b32_e32 v66, 24, v8
	s_wait_alu 0xfffd
	v_cndmask_b32_e32 v55, 0, v4, vcc_lo
	v_cmp_gt_u32_e32 vcc_lo, s4, v13
	v_lshrrev_b32_e32 v53, 16, v1
	v_lshrrev_b32_e32 v69, 16, v5
	v_lshrrev_b32_e32 v57, 16, v2
	v_sub_nc_u16 v45, v43, v55
	s_wait_alu 0xfffd
	v_cndmask_b32_e32 v59, 0, v48, vcc_lo
	v_cmp_gt_u32_e32 vcc_lo, s4, v14
	v_lshrrev_b32_e32 v61, 16, v7
	v_lshrrev_b32_e32 v65, 16, v8
	;; [unrolled: 1-line block ×3, first 2 shown]
	v_sub_nc_u16 v55, v4, v59
	s_wait_alu 0xfffd
	v_cndmask_b32_e32 v63, 0, v49, vcc_lo
	v_cmp_gt_u32_e32 vcc_lo, s4, v15
	v_add_nc_u16 v43, v45, v43
	v_lshrrev_b32_e32 v72, 8, v6
	v_lshrrev_b32_e32 v73, 16, v6
	v_sub_nc_u16 v59, v48, v63
	s_wait_alu 0xfffd
	v_cndmask_b32_e32 v63, 0, v50, vcc_lo
	v_cmp_gt_u32_e32 vcc_lo, s4, v16
	v_add_nc_u16 v46, v67, v46
	s_add_co_i32 s2, s2, -1
	v_add_nc_u16 v48, v59, v48
	s_wait_loadcnt 0x0
	s_wait_alu 0xfffd
	v_cndmask_b32_e32 v71, 0, v1, vcc_lo
	v_cmp_gt_u32_e32 vcc_lo, s4, v17
	s_barrier_signal -1
	s_barrier_wait -1
	global_inv scope:SCOPE_SE
	s_wait_alu 0xfffd
	v_cndmask_b32_e32 v74, 0, v52, vcc_lo
	v_cmp_gt_u32_e32 vcc_lo, s4, v18
	s_delay_alu instid0(VALU_DEP_2)
	v_sub_nc_u16 v74, v1, v74
	s_wait_alu 0xfffd
	v_cndmask_b32_e32 v75, 0, v53, vcc_lo
	v_cmp_gt_u32_e32 vcc_lo, s4, v19
	s_wait_alu 0xfffd
	v_cndmask_b32_e32 v76, 0, v54, vcc_lo
	v_cmp_gt_u32_e32 vcc_lo, s4, v20
	s_delay_alu instid0(VALU_DEP_2) | instskip(SKIP_3) | instid1(VALU_DEP_3)
	v_sub_nc_u16 v76, v53, v76
	s_wait_alu 0xfffd
	v_cndmask_b32_e32 v77, 0, v2, vcc_lo
	v_cmp_gt_u32_e32 vcc_lo, s4, v21
	v_add_nc_u16 v53, v76, v53
	s_wait_alu 0xfffd
	v_cndmask_b32_e32 v78, 0, v56, vcc_lo
	v_sub_nc_u16 v51, v47, v51
	v_cmp_gt_u32_e32 vcc_lo, s4, v22
	s_delay_alu instid0(VALU_DEP_3) | instskip(NEXT) | instid1(VALU_DEP_3)
	v_sub_nc_u16 v78, v2, v78
	v_add_nc_u16 v47, v51, v47
	s_wait_alu 0xfffd
	v_cndmask_b32_e32 v79, 0, v57, vcc_lo
	v_cmp_gt_u32_e32 vcc_lo, s4, v23
	s_wait_alu 0xfffd
	v_cndmask_b32_e32 v80, 0, v58, vcc_lo
	v_cmp_gt_u32_e32 vcc_lo, s4, v24
	s_delay_alu instid0(VALU_DEP_2) | instskip(SKIP_3) | instid1(VALU_DEP_3)
	v_sub_nc_u16 v80, v57, v80
	s_wait_alu 0xfffd
	v_cndmask_b32_e32 v81, 0, v7, vcc_lo
	v_cmp_gt_u32_e32 vcc_lo, s4, v25
	v_add_nc_u16 v57, v80, v57
	s_wait_alu 0xfffd
	v_cndmask_b32_e32 v82, 0, v60, vcc_lo
	v_cmp_gt_u32_e32 vcc_lo, s4, v26
	s_delay_alu instid0(VALU_DEP_2)
	v_sub_nc_u16 v82, v7, v82
	s_wait_alu 0xfffd
	v_cndmask_b32_e32 v83, 0, v61, vcc_lo
	v_cmp_gt_u32_e32 vcc_lo, s4, v27
	s_wait_alu 0xfffd
	v_cndmask_b32_e32 v84, 0, v62, vcc_lo
	v_cmp_gt_u32_e32 vcc_lo, s4, v28
	s_delay_alu instid0(VALU_DEP_2) | instskip(SKIP_3) | instid1(VALU_DEP_3)
	v_sub_nc_u16 v84, v61, v84
	s_wait_alu 0xfffd
	v_cndmask_b32_e32 v85, 0, v8, vcc_lo
	v_cmp_gt_u32_e32 vcc_lo, s4, v29
	v_add_nc_u16 v61, v84, v61
	s_wait_alu 0xfffd
	v_cndmask_b32_e32 v86, 0, v64, vcc_lo
	v_cmp_gt_u32_e32 vcc_lo, s4, v30
	v_sub_nc_u16 v63, v49, v63
	s_delay_alu instid0(VALU_DEP_3)
	v_sub_nc_u16 v86, v8, v86
	s_wait_alu 0xfffd
	v_cndmask_b32_e32 v87, 0, v65, vcc_lo
	v_cmp_gt_u32_e32 vcc_lo, s4, v31
	v_add_nc_u16 v49, v63, v49
	v_add_nc_u16 v63, v86, v8
	s_wait_alu 0xfffd
	v_cndmask_b32_e32 v88, 0, v66, vcc_lo
	v_cmp_gt_u32_e32 vcc_lo, s4, v32
	v_sub_nc_u16 v71, v50, v71
	v_and_b32_e32 v76, 0xff, v63
	s_delay_alu instid0(VALU_DEP_4)
	v_sub_nc_u16 v88, v65, v88
	s_wait_alu 0xfffd
	v_cndmask_b32_e32 v89, 0, v5, vcc_lo
	v_cmp_gt_u32_e32 vcc_lo, s4, v33
	v_add_nc_u16 v50, v71, v50
	v_add_nc_u16 v65, v88, v65
	s_wait_alu 0xfffd
	v_cndmask_b32_e32 v45, 0, v68, vcc_lo
	v_cmp_gt_u32_e32 vcc_lo, s4, v34
	s_delay_alu instid0(VALU_DEP_2)
	v_sub_nc_u16 v91, v5, v45
	s_wait_alu 0xfffd
	v_cndmask_b32_e32 v90, 0, v69, vcc_lo
	v_cmp_gt_u32_e32 vcc_lo, s4, v35
	v_add_nc_u16 v45, v44, v3
	v_add_nc_u16 v44, v55, v4
	v_sub_nc_u16 v77, v54, v77
	v_add_nc_u16 v67, v91, v5
	s_wait_alu 0xfffd
	v_cndmask_b32_e32 v3, 0, v70, vcc_lo
	v_cmp_gt_u32_e32 vcc_lo, s4, v36
	v_lshlrev_b16 v5, 8, v48
	v_add_nc_u16 v54, v77, v54
	v_sub_nc_u16 v90, v68, v90
	v_sub_nc_u16 v3, v69, v3
	s_wait_alu 0xfffd
	v_cndmask_b32_e32 v4, 0, v6, vcc_lo
	v_cmp_gt_u32_e32 vcc_lo, s4, v37
	v_sub_nc_u16 v75, v52, v75
	v_add_nc_u16 v68, v90, v68
	v_add_nc_u16 v69, v3, v69
	v_sub_nc_u16 v4, v70, v4
	s_wait_alu 0xfffd
	v_cndmask_b32_e32 v55, 0, v72, vcc_lo
	v_cmp_gt_u32_e32 vcc_lo, s4, v38
	v_add_nc_u16 v52, v75, v52
	v_lshlrev_b16 v3, 8, v43
	v_add_nc_u16 v70, v4, v70
	v_sub_nc_u16 v92, v6, v55
	s_wait_alu 0xfffd
	v_cndmask_b32_e32 v51, 0, v73, vcc_lo
	v_cmp_gt_u32_e32 vcc_lo, s4, v39
	v_add_nc_u16 v55, v78, v2
	v_lshlrev_b16 v2, 8, v46
	v_add_nc_u16 v71, v92, v6
	v_sub_nc_u16 v93, v72, v51
	v_add_nc_u16 v51, v74, v1
	v_and_b32_e32 v1, 0xff, v45
	s_wait_alu 0xfffd
	v_cndmask_b32_e32 v59, 0, v41, vcc_lo
	v_add_nc_u16 v41, v42, v41
	v_and_b32_e32 v4, 0xff, v44
	v_and_b32_e32 v6, 0xff, v49
	v_or_b32_e32 v1, v1, v2
	v_and_b32_e32 v2, 0xff, v47
	v_sub_nc_u16 v94, v73, v59
	v_add_nc_u16 v59, v82, v7
	v_lshlrev_b16 v7, 8, v50
	v_and_b32_e32 v8, 0xff, v51
	v_lshlrev_b16 v42, 8, v52
	v_and_b32_e32 v74, 0xff, v53
	v_lshlrev_b16 v75, 8, v54
	v_or_b32_e32 v2, v2, v3
	v_sub_nc_u16 v79, v56, v79
	v_sub_nc_u16 v81, v58, v81
	;; [unrolled: 1-line block ×4, first 2 shown]
	v_or_b32_e32 v3, v4, v5
	v_or_b32_e32 v4, v6, v7
	;; [unrolled: 1-line block ×4, first 2 shown]
	v_lshlrev_b32_e32 v2, 16, v2
	v_sub_nc_u16 v87, v64, v87
	v_add_nc_u16 v56, v79, v56
	v_add_nc_u16 v58, v81, v58
	;; [unrolled: 1-line block ×5, first 2 shown]
	v_and_b32_e32 v1, 0xffff, v1
	v_and_b32_e32 v7, 0xffff, v3
	v_lshlrev_b32_e32 v4, 16, v4
	v_sub_nc_u16 v89, v66, v89
	v_and_b32_e32 v5, 0xffff, v5
	v_lshlrev_b32_e32 v6, 16, v6
	v_add_nc_u16 v72, v93, v72
	v_add_nc_u16 v73, v94, v73
	v_add_nc_u16 v66, v89, v66
	v_or_b32_e32 v3, v1, v2
	v_or_b32_e32 v4, v7, v4
	;; [unrolled: 1-line block ×3, first 2 shown]
	v_and_b32_e32 v2, 0xff, v55
	v_lshlrev_b16 v5, 8, v56
	v_and_b32_e32 v6, 0xff, v57
	v_lshlrev_b16 v7, 8, v58
	v_and_b32_e32 v8, 0xff, v59
	v_lshlrev_b16 v42, 8, v60
	v_and_b32_e32 v74, 0xff, v61
	v_lshlrev_b16 v75, 8, v62
	v_lshlrev_b16 v77, 8, v64
	v_or_b32_e32 v2, v2, v5
	v_or_b32_e32 v5, v6, v7
	v_or_b32_e32 v6, v8, v42
	v_or_b32_e32 v7, v74, v75
	v_or_b32_e32 v8, v76, v77
	v_and_b32_e32 v42, 0xff, v65
	v_lshlrev_b16 v74, 8, v66
	v_and_b32_e32 v75, 0xff, v67
	v_lshlrev_b16 v76, 8, v68
	;; [unrolled: 2-line block ×4, first 2 shown]
	v_lshlrev_b16 v81, 8, v41
	v_and_b32_e32 v82, 0xff, v73
	v_or_b32_e32 v42, v42, v74
	v_or_b32_e32 v74, v75, v76
	v_or_b32_e32 v75, v77, v78
	v_or_b32_e32 v76, v79, v80
	v_or_b32_e32 v77, v82, v81
	v_and_b32_e32 v2, 0xffff, v2
	v_lshlrev_b32_e32 v5, 16, v5
	v_and_b32_e32 v6, 0xffff, v6
	v_lshlrev_b32_e32 v7, 16, v7
	;; [unrolled: 2-line block ×5, first 2 shown]
	s_add_co_i32 s4, s3, s4
	v_or_b32_e32 v2, v2, v5
	v_or_b32_e32 v7, v6, v7
	;; [unrolled: 1-line block ×5, first 2 shown]
	s_wait_alu 0xfffe
	s_and_b32 s4, s4, 0x1fff
	s_cmp_lg_u32 s2, 0
	s_cbranch_scc0 .LBB197_4
.LBB197_2:                              ; =>This Inner Loop Header: Depth=1
	s_delay_alu instid0(VALU_DEP_1)
	v_lshrrev_b32_e32 v41, 24, v6
	s_mov_b32 s5, exec_lo
	ds_store_b8 v0, v3 offset:256
	s_wait_dscnt 0x0
	s_barrier_signal -1
	v_mov_b32_e32 v42, v41
	s_barrier_wait -1
	global_inv scope:SCOPE_SE
	s_wait_kmcnt 0x0
	s_wait_alu 0xfffe
	v_cmpx_gt_u32_e64 s4, v40
	s_cbranch_execz .LBB197_1
; %bb.3:                                ;   in Loop: Header=BB197_2 Depth=1
	ds_load_u8 v42, v0 offset:257
	s_wait_dscnt 0x0
	v_sub_nc_u16 v42, v41, v42
	s_branch .LBB197_1
.LBB197_4:
	s_add_nc_u64 s[0:1], s[0:1], s[8:9]
	s_delay_alu instid0(SALU_CYCLE_1)
	v_add_co_u32 v0, s0, s0, v0
	s_wait_alu 0xf1ff
	v_add_co_ci_u32_e64 v1, null, s1, 0, s0
	s_clause 0x1f
	global_store_b8 v[0:1], v45, off
	global_store_b8 v[0:1], v46, off offset:256
	global_store_b8 v[0:1], v47, off offset:512
	;; [unrolled: 1-line block ×31, first 2 shown]
	s_endpgm
	.section	.rodata,"a",@progbits
	.p2align	6, 0x0
	.amdhsa_kernel _Z6kernelI27subtract_right_partial_tileLj256ELj32ELb0EJPaPiS1_jEEvDpT3_
		.amdhsa_group_segment_fixed_size 512
		.amdhsa_private_segment_fixed_size 0
		.amdhsa_kernarg_size 28
		.amdhsa_user_sgpr_count 2
		.amdhsa_user_sgpr_dispatch_ptr 0
		.amdhsa_user_sgpr_queue_ptr 0
		.amdhsa_user_sgpr_kernarg_segment_ptr 1
		.amdhsa_user_sgpr_dispatch_id 0
		.amdhsa_user_sgpr_private_segment_size 0
		.amdhsa_wavefront_size32 1
		.amdhsa_uses_dynamic_stack 0
		.amdhsa_enable_private_segment 0
		.amdhsa_system_sgpr_workgroup_id_x 1
		.amdhsa_system_sgpr_workgroup_id_y 0
		.amdhsa_system_sgpr_workgroup_id_z 0
		.amdhsa_system_sgpr_workgroup_info 0
		.amdhsa_system_vgpr_workitem_id 0
		.amdhsa_next_free_vgpr 95
		.amdhsa_next_free_sgpr 12
		.amdhsa_reserve_vcc 1
		.amdhsa_float_round_mode_32 0
		.amdhsa_float_round_mode_16_64 0
		.amdhsa_float_denorm_mode_32 3
		.amdhsa_float_denorm_mode_16_64 3
		.amdhsa_fp16_overflow 0
		.amdhsa_workgroup_processor_mode 1
		.amdhsa_memory_ordered 1
		.amdhsa_forward_progress 1
		.amdhsa_inst_pref_size 24
		.amdhsa_round_robin_scheduling 0
		.amdhsa_exception_fp_ieee_invalid_op 0
		.amdhsa_exception_fp_denorm_src 0
		.amdhsa_exception_fp_ieee_div_zero 0
		.amdhsa_exception_fp_ieee_overflow 0
		.amdhsa_exception_fp_ieee_underflow 0
		.amdhsa_exception_fp_ieee_inexact 0
		.amdhsa_exception_int_div_zero 0
	.end_amdhsa_kernel
	.section	.text._Z6kernelI27subtract_right_partial_tileLj256ELj32ELb0EJPaPiS1_jEEvDpT3_,"axG",@progbits,_Z6kernelI27subtract_right_partial_tileLj256ELj32ELb0EJPaPiS1_jEEvDpT3_,comdat
.Lfunc_end197:
	.size	_Z6kernelI27subtract_right_partial_tileLj256ELj32ELb0EJPaPiS1_jEEvDpT3_, .Lfunc_end197-_Z6kernelI27subtract_right_partial_tileLj256ELj32ELb0EJPaPiS1_jEEvDpT3_
                                        ; -- End function
	.set _Z6kernelI27subtract_right_partial_tileLj256ELj32ELb0EJPaPiS1_jEEvDpT3_.num_vgpr, 95
	.set _Z6kernelI27subtract_right_partial_tileLj256ELj32ELb0EJPaPiS1_jEEvDpT3_.num_agpr, 0
	.set _Z6kernelI27subtract_right_partial_tileLj256ELj32ELb0EJPaPiS1_jEEvDpT3_.numbered_sgpr, 12
	.set _Z6kernelI27subtract_right_partial_tileLj256ELj32ELb0EJPaPiS1_jEEvDpT3_.num_named_barrier, 0
	.set _Z6kernelI27subtract_right_partial_tileLj256ELj32ELb0EJPaPiS1_jEEvDpT3_.private_seg_size, 0
	.set _Z6kernelI27subtract_right_partial_tileLj256ELj32ELb0EJPaPiS1_jEEvDpT3_.uses_vcc, 1
	.set _Z6kernelI27subtract_right_partial_tileLj256ELj32ELb0EJPaPiS1_jEEvDpT3_.uses_flat_scratch, 0
	.set _Z6kernelI27subtract_right_partial_tileLj256ELj32ELb0EJPaPiS1_jEEvDpT3_.has_dyn_sized_stack, 0
	.set _Z6kernelI27subtract_right_partial_tileLj256ELj32ELb0EJPaPiS1_jEEvDpT3_.has_recursion, 0
	.set _Z6kernelI27subtract_right_partial_tileLj256ELj32ELb0EJPaPiS1_jEEvDpT3_.has_indirect_call, 0
	.section	.AMDGPU.csdata,"",@progbits
; Kernel info:
; codeLenInByte = 3064
; TotalNumSgprs: 14
; NumVgprs: 95
; ScratchSize: 0
; MemoryBound: 0
; FloatMode: 240
; IeeeMode: 1
; LDSByteSize: 512 bytes/workgroup (compile time only)
; SGPRBlocks: 0
; VGPRBlocks: 11
; NumSGPRsForWavesPerEU: 14
; NumVGPRsForWavesPerEU: 95
; Occupancy: 16
; WaveLimiterHint : 1
; COMPUTE_PGM_RSRC2:SCRATCH_EN: 0
; COMPUTE_PGM_RSRC2:USER_SGPR: 2
; COMPUTE_PGM_RSRC2:TRAP_HANDLER: 0
; COMPUTE_PGM_RSRC2:TGID_X_EN: 1
; COMPUTE_PGM_RSRC2:TGID_Y_EN: 0
; COMPUTE_PGM_RSRC2:TGID_Z_EN: 0
; COMPUTE_PGM_RSRC2:TIDIG_COMP_CNT: 0
	.section	.text._Z6kernelI27subtract_right_partial_tileLj256ELj1ELb0EJPxPiS1_jEEvDpT3_,"axG",@progbits,_Z6kernelI27subtract_right_partial_tileLj256ELj1ELb0EJPxPiS1_jEEvDpT3_,comdat
	.protected	_Z6kernelI27subtract_right_partial_tileLj256ELj1ELb0EJPxPiS1_jEEvDpT3_ ; -- Begin function _Z6kernelI27subtract_right_partial_tileLj256ELj1ELb0EJPxPiS1_jEEvDpT3_
	.globl	_Z6kernelI27subtract_right_partial_tileLj256ELj1ELb0EJPxPiS1_jEEvDpT3_
	.p2align	8
	.type	_Z6kernelI27subtract_right_partial_tileLj256ELj1ELb0EJPxPiS1_jEEvDpT3_,@function
_Z6kernelI27subtract_right_partial_tileLj256ELj1ELb0EJPxPiS1_jEEvDpT3_: ; @_Z6kernelI27subtract_right_partial_tileLj256ELj1ELb0EJPxPiS1_jEEvDpT3_
; %bb.0:
	s_load_b128 s[8:11], s[0:1], 0x0
	s_lshl_b32 s6, ttmp9, 8
	s_mov_b32 s7, 0
	v_lshlrev_b32_e32 v5, 3, v0
	s_lshl_b64 s[4:5], s[6:7], 3
	s_load_b96 s[0:2], s[0:1], 0x10
	s_mov_b32 s6, ttmp9
	v_add_nc_u32_e32 v6, 1, v0
	s_lshl_b64 s[6:7], s[6:7], 2
	s_wait_kmcnt 0x0
	s_add_nc_u64 s[8:9], s[8:9], s[4:5]
	s_add_nc_u64 s[6:7], s[10:11], s[6:7]
	global_load_b64 v[1:2], v5, s[8:9]
	s_cvt_f32_u32 s3, s2
	s_delay_alu instid0(SALU_CYCLE_3) | instskip(NEXT) | instid1(TRANS32_DEP_1)
	v_rcp_iflag_f32_e32 v3, s3
	v_readfirstlane_b32 s3, v3
	s_mul_f32 s3, s3, 0x4f7ffffe
	s_wait_alu 0xfffe
	s_delay_alu instid0(SALU_CYCLE_2) | instskip(SKIP_2) | instid1(SALU_CYCLE_1)
	s_cvt_u32_f32 s8, s3
	s_sub_co_i32 s3, 0, s2
	s_wait_alu 0xfffe
	s_mul_i32 s3, s3, s8
	s_wait_alu 0xfffe
	s_mul_hi_u32 s9, s8, s3
	s_load_b32 s3, s[6:7], 0x0
	s_add_co_i32 s8, s8, s9
	s_delay_alu instid0(SALU_CYCLE_1) | instskip(NEXT) | instid1(SALU_CYCLE_1)
	s_lshr_b32 s6, s8, 24
	s_mul_i32 s7, s6, s2
	s_add_co_i32 s8, s6, 1
	s_sub_co_i32 s7, 0x100, s7
	s_delay_alu instid0(SALU_CYCLE_1)
	s_sub_co_i32 s9, s7, s2
	s_cmp_ge_u32 s7, s2
	s_cselect_b32 s6, s8, s6
	s_cselect_b32 s7, s9, s7
	s_add_co_i32 s8, s6, 1
	s_cmp_ge_u32 s7, s2
	s_cselect_b32 s6, s8, s6
	s_delay_alu instid0(SALU_CYCLE_1)
	s_add_co_i32 s6, s6, 1
	s_branch .LBB198_2
.LBB198_1:                              ;   in Loop: Header=BB198_2 Depth=1
	s_or_b32 exec_lo, exec_lo, s7
	v_add_co_u32 v1, vcc_lo, v3, v1
	s_add_co_i32 s3, s6, s3
	s_wait_alu 0xfffd
	v_add_co_ci_u32_e64 v2, null, v4, v2, vcc_lo
	s_add_co_i32 s2, s2, -1
	s_wait_alu 0xfffe
	s_and_b32 s3, s3, 0xff
	s_cmp_lg_u32 s2, 0
	s_wait_loadcnt 0x0
	s_barrier_signal -1
	s_barrier_wait -1
	global_inv scope:SCOPE_SE
	s_cbranch_scc0 .LBB198_4
.LBB198_2:                              ; =>This Inner Loop Header: Depth=1
	s_wait_loadcnt 0x0
	v_dual_mov_b32 v4, v2 :: v_dual_mov_b32 v3, v1
	s_mov_b32 s7, exec_lo
	ds_store_b64 v5, v[1:2] offset:2048
	s_wait_dscnt 0x0
	s_barrier_signal -1
	s_barrier_wait -1
	global_inv scope:SCOPE_SE
	s_wait_kmcnt 0x0
	s_wait_alu 0xfffe
	v_cmpx_gt_u32_e64 s3, v6
	s_cbranch_execz .LBB198_1
; %bb.3:                                ;   in Loop: Header=BB198_2 Depth=1
	ds_load_b64 v[3:4], v5 offset:2056
	s_wait_dscnt 0x0
	v_sub_co_u32 v3, vcc_lo, v1, v3
	s_wait_alu 0xfffd
	v_sub_co_ci_u32_e64 v4, null, v2, v4, vcc_lo
	s_branch .LBB198_1
.LBB198_4:
	v_lshlrev_b32_e32 v0, 3, v0
	s_add_nc_u64 s[0:1], s[0:1], s[4:5]
	global_store_b64 v0, v[1:2], s[0:1]
	s_endpgm
	.section	.rodata,"a",@progbits
	.p2align	6, 0x0
	.amdhsa_kernel _Z6kernelI27subtract_right_partial_tileLj256ELj1ELb0EJPxPiS1_jEEvDpT3_
		.amdhsa_group_segment_fixed_size 4096
		.amdhsa_private_segment_fixed_size 0
		.amdhsa_kernarg_size 28
		.amdhsa_user_sgpr_count 2
		.amdhsa_user_sgpr_dispatch_ptr 0
		.amdhsa_user_sgpr_queue_ptr 0
		.amdhsa_user_sgpr_kernarg_segment_ptr 1
		.amdhsa_user_sgpr_dispatch_id 0
		.amdhsa_user_sgpr_private_segment_size 0
		.amdhsa_wavefront_size32 1
		.amdhsa_uses_dynamic_stack 0
		.amdhsa_enable_private_segment 0
		.amdhsa_system_sgpr_workgroup_id_x 1
		.amdhsa_system_sgpr_workgroup_id_y 0
		.amdhsa_system_sgpr_workgroup_id_z 0
		.amdhsa_system_sgpr_workgroup_info 0
		.amdhsa_system_vgpr_workitem_id 0
		.amdhsa_next_free_vgpr 7
		.amdhsa_next_free_sgpr 12
		.amdhsa_reserve_vcc 1
		.amdhsa_float_round_mode_32 0
		.amdhsa_float_round_mode_16_64 0
		.amdhsa_float_denorm_mode_32 3
		.amdhsa_float_denorm_mode_16_64 3
		.amdhsa_fp16_overflow 0
		.amdhsa_workgroup_processor_mode 1
		.amdhsa_memory_ordered 1
		.amdhsa_forward_progress 1
		.amdhsa_inst_pref_size 4
		.amdhsa_round_robin_scheduling 0
		.amdhsa_exception_fp_ieee_invalid_op 0
		.amdhsa_exception_fp_denorm_src 0
		.amdhsa_exception_fp_ieee_div_zero 0
		.amdhsa_exception_fp_ieee_overflow 0
		.amdhsa_exception_fp_ieee_underflow 0
		.amdhsa_exception_fp_ieee_inexact 0
		.amdhsa_exception_int_div_zero 0
	.end_amdhsa_kernel
	.section	.text._Z6kernelI27subtract_right_partial_tileLj256ELj1ELb0EJPxPiS1_jEEvDpT3_,"axG",@progbits,_Z6kernelI27subtract_right_partial_tileLj256ELj1ELb0EJPxPiS1_jEEvDpT3_,comdat
.Lfunc_end198:
	.size	_Z6kernelI27subtract_right_partial_tileLj256ELj1ELb0EJPxPiS1_jEEvDpT3_, .Lfunc_end198-_Z6kernelI27subtract_right_partial_tileLj256ELj1ELb0EJPxPiS1_jEEvDpT3_
                                        ; -- End function
	.set _Z6kernelI27subtract_right_partial_tileLj256ELj1ELb0EJPxPiS1_jEEvDpT3_.num_vgpr, 7
	.set _Z6kernelI27subtract_right_partial_tileLj256ELj1ELb0EJPxPiS1_jEEvDpT3_.num_agpr, 0
	.set _Z6kernelI27subtract_right_partial_tileLj256ELj1ELb0EJPxPiS1_jEEvDpT3_.numbered_sgpr, 12
	.set _Z6kernelI27subtract_right_partial_tileLj256ELj1ELb0EJPxPiS1_jEEvDpT3_.num_named_barrier, 0
	.set _Z6kernelI27subtract_right_partial_tileLj256ELj1ELb0EJPxPiS1_jEEvDpT3_.private_seg_size, 0
	.set _Z6kernelI27subtract_right_partial_tileLj256ELj1ELb0EJPxPiS1_jEEvDpT3_.uses_vcc, 1
	.set _Z6kernelI27subtract_right_partial_tileLj256ELj1ELb0EJPxPiS1_jEEvDpT3_.uses_flat_scratch, 0
	.set _Z6kernelI27subtract_right_partial_tileLj256ELj1ELb0EJPxPiS1_jEEvDpT3_.has_dyn_sized_stack, 0
	.set _Z6kernelI27subtract_right_partial_tileLj256ELj1ELb0EJPxPiS1_jEEvDpT3_.has_recursion, 0
	.set _Z6kernelI27subtract_right_partial_tileLj256ELj1ELb0EJPxPiS1_jEEvDpT3_.has_indirect_call, 0
	.section	.AMDGPU.csdata,"",@progbits
; Kernel info:
; codeLenInByte = 408
; TotalNumSgprs: 14
; NumVgprs: 7
; ScratchSize: 0
; MemoryBound: 0
; FloatMode: 240
; IeeeMode: 1
; LDSByteSize: 4096 bytes/workgroup (compile time only)
; SGPRBlocks: 0
; VGPRBlocks: 0
; NumSGPRsForWavesPerEU: 14
; NumVGPRsForWavesPerEU: 7
; Occupancy: 16
; WaveLimiterHint : 0
; COMPUTE_PGM_RSRC2:SCRATCH_EN: 0
; COMPUTE_PGM_RSRC2:USER_SGPR: 2
; COMPUTE_PGM_RSRC2:TRAP_HANDLER: 0
; COMPUTE_PGM_RSRC2:TGID_X_EN: 1
; COMPUTE_PGM_RSRC2:TGID_Y_EN: 0
; COMPUTE_PGM_RSRC2:TGID_Z_EN: 0
; COMPUTE_PGM_RSRC2:TIDIG_COMP_CNT: 0
	.section	.text._Z6kernelI27subtract_right_partial_tileLj256ELj3ELb0EJPxPiS1_jEEvDpT3_,"axG",@progbits,_Z6kernelI27subtract_right_partial_tileLj256ELj3ELb0EJPxPiS1_jEEvDpT3_,comdat
	.protected	_Z6kernelI27subtract_right_partial_tileLj256ELj3ELb0EJPxPiS1_jEEvDpT3_ ; -- Begin function _Z6kernelI27subtract_right_partial_tileLj256ELj3ELb0EJPxPiS1_jEEvDpT3_
	.globl	_Z6kernelI27subtract_right_partial_tileLj256ELj3ELb0EJPxPiS1_jEEvDpT3_
	.p2align	8
	.type	_Z6kernelI27subtract_right_partial_tileLj256ELj3ELb0EJPxPiS1_jEEvDpT3_,@function
_Z6kernelI27subtract_right_partial_tileLj256ELj3ELb0EJPxPiS1_jEEvDpT3_: ; @_Z6kernelI27subtract_right_partial_tileLj256ELj3ELb0EJPxPiS1_jEEvDpT3_
; %bb.0:
	s_load_b128 s[8:11], s[0:1], 0x0
	s_mul_i32 s6, ttmp9, 0x300
	s_mov_b32 s7, 0
	v_lshlrev_b32_e32 v9, 3, v0
	s_lshl_b64 s[4:5], s[6:7], 3
	s_load_b96 s[0:2], s[0:1], 0x10
	v_mad_u32_u24 v10, v0, 3, 1
	v_mad_u32_u24 v11, v0, 3, 2
	;; [unrolled: 1-line block ×3, first 2 shown]
	s_wait_kmcnt 0x0
	s_add_nc_u64 s[8:9], s[8:9], s[4:5]
	s_clause 0x2
	global_load_b64 v[1:2], v9, s[8:9]
	global_load_b64 v[3:4], v9, s[8:9] offset:2048
	global_load_b64 v[5:6], v9, s[8:9] offset:4096
	s_cvt_f32_u32 s3, s2
	s_sub_co_i32 s6, 0, s2
	s_delay_alu instid0(SALU_CYCLE_2) | instskip(NEXT) | instid1(TRANS32_DEP_1)
	v_rcp_iflag_f32_e32 v7, s3
	v_readfirstlane_b32 s3, v7
	s_mul_f32 s3, s3, 0x4f7ffffe
	s_wait_alu 0xfffe
	s_delay_alu instid0(SALU_CYCLE_2) | instskip(SKIP_1) | instid1(SALU_CYCLE_2)
	s_cvt_u32_f32 s3, s3
	s_wait_alu 0xfffe
	s_mul_i32 s8, s6, s3
	s_mov_b32 s6, ttmp9
	s_mul_hi_u32 s8, s3, s8
	s_lshl_b64 s[6:7], s[6:7], 2
	s_add_co_i32 s8, s3, s8
	s_add_nc_u64 s[6:7], s[10:11], s[6:7]
	s_load_b32 s3, s[6:7], 0x0
	s_mul_hi_u32 s7, s8, 0x300
	s_delay_alu instid0(SALU_CYCLE_1)
	s_mul_i32 s6, s7, s2
	s_add_co_i32 s9, s7, 1
	s_sub_co_i32 s8, 0x300, s6
	s_mov_b32 s6, s0
	s_sub_co_i32 s10, s8, s2
	s_cmp_ge_u32 s8, s2
	s_cselect_b32 s0, s9, s7
	s_cselect_b32 s7, s10, s8
	s_add_co_i32 s8, s0, 1
	s_cmp_ge_u32 s7, s2
	s_mov_b32 s7, s1
	s_cselect_b32 s0, s8, s0
	s_delay_alu instid0(SALU_CYCLE_1)
	s_add_co_i32 s1, s0, 1
	s_branch .LBB199_2
.LBB199_1:                              ;   in Loop: Header=BB199_2 Depth=1
	s_or_b32 exec_lo, exec_lo, s0
	v_cmp_gt_u32_e32 vcc_lo, s3, v10
	v_cmp_gt_u32_e64 s0, s3, v11
	s_add_co_i32 s3, s1, s3
	s_add_co_i32 s2, s2, -1
	s_wait_loadcnt 0x0
	s_wait_alu 0xfffd
	v_dual_cndmask_b32 v13, 0, v4 :: v_dual_cndmask_b32 v14, 0, v3
	v_cndmask_b32_e64 v16, 0, v5, s0
	v_cndmask_b32_e64 v15, 0, v6, s0
	s_wait_alu 0xfffe
	s_mul_hi_u32 s0, s3, 0xaaaaaaab
	s_barrier_signal -1
	v_sub_co_u32 v14, vcc_lo, v1, v14
	s_wait_alu 0xfffd
	v_sub_co_ci_u32_e64 v13, null, v2, v13, vcc_lo
	v_sub_co_u32 v16, vcc_lo, v3, v16
	s_wait_alu 0xfffd
	v_sub_co_ci_u32_e64 v15, null, v4, v15, vcc_lo
	v_add_co_u32 v1, vcc_lo, v14, v1
	s_wait_alu 0xfffd
	v_add_co_ci_u32_e64 v2, null, v13, v2, vcc_lo
	v_add_co_u32 v3, vcc_lo, v16, v3
	s_wait_alu 0xfffe
	s_lshr_b32 s0, s0, 9
	s_wait_alu 0xfffd
	v_add_co_ci_u32_e64 v4, null, v15, v4, vcc_lo
	v_add_co_u32 v5, vcc_lo, v7, v5
	s_wait_alu 0xfffe
	s_mulk_i32 s0, 0x300
	s_wait_alu 0xfffd
	v_add_co_ci_u32_e64 v6, null, v8, v6, vcc_lo
	s_wait_alu 0xfffe
	s_sub_co_i32 s3, s3, s0
	s_cmp_lg_u32 s2, 0
	s_barrier_wait -1
	global_inv scope:SCOPE_SE
	s_cbranch_scc0 .LBB199_4
.LBB199_2:                              ; =>This Inner Loop Header: Depth=1
	s_wait_loadcnt 0x0
	v_dual_mov_b32 v8, v6 :: v_dual_mov_b32 v7, v5
	s_mov_b32 s0, exec_lo
	ds_store_b64 v9, v[1:2] offset:2048
	s_wait_dscnt 0x0
	s_barrier_signal -1
	s_barrier_wait -1
	global_inv scope:SCOPE_SE
	s_wait_kmcnt 0x0
	s_wait_alu 0xfffe
	v_cmpx_gt_u32_e64 s3, v12
	s_cbranch_execz .LBB199_1
; %bb.3:                                ;   in Loop: Header=BB199_2 Depth=1
	ds_load_b64 v[7:8], v9 offset:2056
	s_wait_dscnt 0x0
	v_sub_co_u32 v7, vcc_lo, v5, v7
	s_wait_alu 0xfffd
	v_sub_co_ci_u32_e64 v8, null, v6, v8, vcc_lo
	s_branch .LBB199_1
.LBB199_4:
	v_lshlrev_b32_e32 v0, 3, v0
	s_add_nc_u64 s[0:1], s[6:7], s[4:5]
	s_clause 0x2
	global_store_b64 v0, v[1:2], s[0:1]
	global_store_b64 v0, v[3:4], s[0:1] offset:2048
	global_store_b64 v0, v[5:6], s[0:1] offset:4096
	s_endpgm
	.section	.rodata,"a",@progbits
	.p2align	6, 0x0
	.amdhsa_kernel _Z6kernelI27subtract_right_partial_tileLj256ELj3ELb0EJPxPiS1_jEEvDpT3_
		.amdhsa_group_segment_fixed_size 4096
		.amdhsa_private_segment_fixed_size 0
		.amdhsa_kernarg_size 28
		.amdhsa_user_sgpr_count 2
		.amdhsa_user_sgpr_dispatch_ptr 0
		.amdhsa_user_sgpr_queue_ptr 0
		.amdhsa_user_sgpr_kernarg_segment_ptr 1
		.amdhsa_user_sgpr_dispatch_id 0
		.amdhsa_user_sgpr_private_segment_size 0
		.amdhsa_wavefront_size32 1
		.amdhsa_uses_dynamic_stack 0
		.amdhsa_enable_private_segment 0
		.amdhsa_system_sgpr_workgroup_id_x 1
		.amdhsa_system_sgpr_workgroup_id_y 0
		.amdhsa_system_sgpr_workgroup_id_z 0
		.amdhsa_system_sgpr_workgroup_info 0
		.amdhsa_system_vgpr_workitem_id 0
		.amdhsa_next_free_vgpr 17
		.amdhsa_next_free_sgpr 12
		.amdhsa_reserve_vcc 1
		.amdhsa_float_round_mode_32 0
		.amdhsa_float_round_mode_16_64 0
		.amdhsa_float_denorm_mode_32 3
		.amdhsa_float_denorm_mode_16_64 3
		.amdhsa_fp16_overflow 0
		.amdhsa_workgroup_processor_mode 1
		.amdhsa_memory_ordered 1
		.amdhsa_forward_progress 1
		.amdhsa_inst_pref_size 5
		.amdhsa_round_robin_scheduling 0
		.amdhsa_exception_fp_ieee_invalid_op 0
		.amdhsa_exception_fp_denorm_src 0
		.amdhsa_exception_fp_ieee_div_zero 0
		.amdhsa_exception_fp_ieee_overflow 0
		.amdhsa_exception_fp_ieee_underflow 0
		.amdhsa_exception_fp_ieee_inexact 0
		.amdhsa_exception_int_div_zero 0
	.end_amdhsa_kernel
	.section	.text._Z6kernelI27subtract_right_partial_tileLj256ELj3ELb0EJPxPiS1_jEEvDpT3_,"axG",@progbits,_Z6kernelI27subtract_right_partial_tileLj256ELj3ELb0EJPxPiS1_jEEvDpT3_,comdat
.Lfunc_end199:
	.size	_Z6kernelI27subtract_right_partial_tileLj256ELj3ELb0EJPxPiS1_jEEvDpT3_, .Lfunc_end199-_Z6kernelI27subtract_right_partial_tileLj256ELj3ELb0EJPxPiS1_jEEvDpT3_
                                        ; -- End function
	.set _Z6kernelI27subtract_right_partial_tileLj256ELj3ELb0EJPxPiS1_jEEvDpT3_.num_vgpr, 17
	.set _Z6kernelI27subtract_right_partial_tileLj256ELj3ELb0EJPxPiS1_jEEvDpT3_.num_agpr, 0
	.set _Z6kernelI27subtract_right_partial_tileLj256ELj3ELb0EJPxPiS1_jEEvDpT3_.numbered_sgpr, 12
	.set _Z6kernelI27subtract_right_partial_tileLj256ELj3ELb0EJPxPiS1_jEEvDpT3_.num_named_barrier, 0
	.set _Z6kernelI27subtract_right_partial_tileLj256ELj3ELb0EJPxPiS1_jEEvDpT3_.private_seg_size, 0
	.set _Z6kernelI27subtract_right_partial_tileLj256ELj3ELb0EJPxPiS1_jEEvDpT3_.uses_vcc, 1
	.set _Z6kernelI27subtract_right_partial_tileLj256ELj3ELb0EJPxPiS1_jEEvDpT3_.uses_flat_scratch, 0
	.set _Z6kernelI27subtract_right_partial_tileLj256ELj3ELb0EJPxPiS1_jEEvDpT3_.has_dyn_sized_stack, 0
	.set _Z6kernelI27subtract_right_partial_tileLj256ELj3ELb0EJPxPiS1_jEEvDpT3_.has_recursion, 0
	.set _Z6kernelI27subtract_right_partial_tileLj256ELj3ELb0EJPxPiS1_jEEvDpT3_.has_indirect_call, 0
	.section	.AMDGPU.csdata,"",@progbits
; Kernel info:
; codeLenInByte = 636
; TotalNumSgprs: 14
; NumVgprs: 17
; ScratchSize: 0
; MemoryBound: 0
; FloatMode: 240
; IeeeMode: 1
; LDSByteSize: 4096 bytes/workgroup (compile time only)
; SGPRBlocks: 0
; VGPRBlocks: 2
; NumSGPRsForWavesPerEU: 14
; NumVGPRsForWavesPerEU: 17
; Occupancy: 16
; WaveLimiterHint : 1
; COMPUTE_PGM_RSRC2:SCRATCH_EN: 0
; COMPUTE_PGM_RSRC2:USER_SGPR: 2
; COMPUTE_PGM_RSRC2:TRAP_HANDLER: 0
; COMPUTE_PGM_RSRC2:TGID_X_EN: 1
; COMPUTE_PGM_RSRC2:TGID_Y_EN: 0
; COMPUTE_PGM_RSRC2:TGID_Z_EN: 0
; COMPUTE_PGM_RSRC2:TIDIG_COMP_CNT: 0
	.section	.text._Z6kernelI27subtract_right_partial_tileLj256ELj4ELb0EJPxPiS1_jEEvDpT3_,"axG",@progbits,_Z6kernelI27subtract_right_partial_tileLj256ELj4ELb0EJPxPiS1_jEEvDpT3_,comdat
	.protected	_Z6kernelI27subtract_right_partial_tileLj256ELj4ELb0EJPxPiS1_jEEvDpT3_ ; -- Begin function _Z6kernelI27subtract_right_partial_tileLj256ELj4ELb0EJPxPiS1_jEEvDpT3_
	.globl	_Z6kernelI27subtract_right_partial_tileLj256ELj4ELb0EJPxPiS1_jEEvDpT3_
	.p2align	8
	.type	_Z6kernelI27subtract_right_partial_tileLj256ELj4ELb0EJPxPiS1_jEEvDpT3_,@function
_Z6kernelI27subtract_right_partial_tileLj256ELj4ELb0EJPxPiS1_jEEvDpT3_: ; @_Z6kernelI27subtract_right_partial_tileLj256ELj4ELb0EJPxPiS1_jEEvDpT3_
; %bb.0:
	s_load_b128 s[8:11], s[0:1], 0x0
	s_lshl_b32 s6, ttmp9, 10
	s_mov_b32 s7, 0
	v_lshlrev_b32_e32 v11, 3, v0
	s_lshl_b64 s[4:5], s[6:7], 3
	s_load_b96 s[0:2], s[0:1], 0x10
	s_wait_kmcnt 0x0
	s_add_nc_u64 s[8:9], s[8:9], s[4:5]
	s_clause 0x3
	global_load_b64 v[1:2], v11, s[8:9]
	global_load_b64 v[3:4], v11, s[8:9] offset:2048
	global_load_b64 v[5:6], v11, s[8:9] offset:4096
	;; [unrolled: 1-line block ×3, first 2 shown]
	s_cvt_f32_u32 s3, s2
	s_sub_co_i32 s6, 0, s2
	s_delay_alu instid0(SALU_CYCLE_2) | instskip(NEXT) | instid1(TRANS32_DEP_1)
	v_rcp_iflag_f32_e32 v9, s3
	v_readfirstlane_b32 s3, v9
	v_lshlrev_b32_e32 v9, 2, v0
	s_mul_f32 s3, s3, 0x4f7ffffe
	s_delay_alu instid0(VALU_DEP_1)
	v_or_b32_e32 v12, 1, v9
	v_or_b32_e32 v13, 2, v9
	;; [unrolled: 1-line block ×3, first 2 shown]
	s_wait_alu 0xfffe
	s_cvt_u32_f32 s3, s3
	v_add_nc_u32_e32 v15, 4, v9
	s_wait_alu 0xfffe
	s_delay_alu instid0(SALU_CYCLE_1) | instskip(NEXT) | instid1(SALU_CYCLE_1)
	s_mul_i32 s6, s6, s3
	s_mul_hi_u32 s8, s3, s6
	s_mov_b32 s6, ttmp9
	s_add_co_i32 s3, s3, s8
	s_lshl_b64 s[6:7], s[6:7], 2
	s_wait_alu 0xfffe
	s_lshr_b32 s8, s3, 22
	s_add_nc_u64 s[6:7], s[10:11], s[6:7]
	s_load_b32 s3, s[6:7], 0x0
	s_mul_i32 s7, s8, s2
	s_mov_b32 s6, s0
	s_sub_co_i32 s0, 0x400, s7
	s_add_co_i32 s7, s8, 1
	s_sub_co_i32 s9, s0, s2
	s_cmp_ge_u32 s0, s2
	s_cselect_b32 s7, s7, s8
	s_cselect_b32 s0, s9, s0
	s_add_co_i32 s8, s7, 1
	s_cmp_ge_u32 s0, s2
	s_cselect_b32 s0, s8, s7
	s_mov_b32 s7, s1
	s_add_co_i32 s1, s0, 1
	s_branch .LBB200_2
.LBB200_1:                              ;   in Loop: Header=BB200_2 Depth=1
	s_or_b32 exec_lo, exec_lo, s0
	v_cmp_gt_u32_e32 vcc_lo, s3, v12
	v_cmp_gt_u32_e64 s0, s3, v13
	s_add_co_i32 s2, s2, -1
	s_wait_loadcnt 0x0
	s_barrier_signal -1
	s_wait_alu 0xfffd
	v_dual_cndmask_b32 v16, 0, v4 :: v_dual_cndmask_b32 v17, 0, v3
	v_cmp_gt_u32_e32 vcc_lo, s3, v14
	v_cndmask_b32_e64 v19, 0, v5, s0
	v_cndmask_b32_e64 v18, 0, v6, s0
	s_barrier_wait -1
	v_sub_co_u32 v17, s0, v1, v17
	s_wait_alu 0xfffd
	v_dual_cndmask_b32 v20, 0, v8 :: v_dual_cndmask_b32 v21, 0, v7
	v_sub_co_u32 v19, vcc_lo, v3, v19
	s_wait_alu 0xf1ff
	v_sub_co_ci_u32_e64 v16, null, v2, v16, s0
	s_wait_alu 0xfffd
	v_sub_co_ci_u32_e64 v18, null, v4, v18, vcc_lo
	v_sub_co_u32 v21, vcc_lo, v5, v21
	s_wait_alu 0xfffd
	v_sub_co_ci_u32_e64 v20, null, v6, v20, vcc_lo
	v_add_co_u32 v1, vcc_lo, v17, v1
	s_wait_alu 0xfffd
	v_add_co_ci_u32_e64 v2, null, v16, v2, vcc_lo
	v_add_co_u32 v3, vcc_lo, v19, v3
	s_wait_alu 0xfffd
	v_add_co_ci_u32_e64 v4, null, v18, v4, vcc_lo
	;; [unrolled: 3-line block ×3, first 2 shown]
	v_add_co_u32 v7, vcc_lo, v9, v7
	s_add_co_i32 s0, s1, s3
	s_wait_alu 0xfffd
	v_add_co_ci_u32_e64 v8, null, v10, v8, vcc_lo
	s_wait_alu 0xfffe
	s_and_b32 s3, s0, 0x3ff
	s_cmp_lg_u32 s2, 0
	global_inv scope:SCOPE_SE
	s_cbranch_scc0 .LBB200_4
.LBB200_2:                              ; =>This Inner Loop Header: Depth=1
	s_wait_loadcnt 0x0
	v_dual_mov_b32 v10, v8 :: v_dual_mov_b32 v9, v7
	s_mov_b32 s0, exec_lo
	ds_store_b64 v11, v[1:2] offset:2048
	s_wait_dscnt 0x0
	s_barrier_signal -1
	s_barrier_wait -1
	global_inv scope:SCOPE_SE
	s_wait_kmcnt 0x0
	s_wait_alu 0xfffe
	v_cmpx_gt_u32_e64 s3, v15
	s_cbranch_execz .LBB200_1
; %bb.3:                                ;   in Loop: Header=BB200_2 Depth=1
	ds_load_b64 v[9:10], v11 offset:2056
	s_wait_dscnt 0x0
	v_sub_co_u32 v9, vcc_lo, v7, v9
	s_wait_alu 0xfffd
	v_sub_co_ci_u32_e64 v10, null, v8, v10, vcc_lo
	s_branch .LBB200_1
.LBB200_4:
	v_lshlrev_b32_e32 v0, 3, v0
	s_add_nc_u64 s[0:1], s[6:7], s[4:5]
	s_clause 0x3
	global_store_b64 v0, v[1:2], s[0:1]
	global_store_b64 v0, v[3:4], s[0:1] offset:2048
	global_store_b64 v0, v[5:6], s[0:1] offset:4096
	;; [unrolled: 1-line block ×3, first 2 shown]
	s_endpgm
	.section	.rodata,"a",@progbits
	.p2align	6, 0x0
	.amdhsa_kernel _Z6kernelI27subtract_right_partial_tileLj256ELj4ELb0EJPxPiS1_jEEvDpT3_
		.amdhsa_group_segment_fixed_size 4096
		.amdhsa_private_segment_fixed_size 0
		.amdhsa_kernarg_size 28
		.amdhsa_user_sgpr_count 2
		.amdhsa_user_sgpr_dispatch_ptr 0
		.amdhsa_user_sgpr_queue_ptr 0
		.amdhsa_user_sgpr_kernarg_segment_ptr 1
		.amdhsa_user_sgpr_dispatch_id 0
		.amdhsa_user_sgpr_private_segment_size 0
		.amdhsa_wavefront_size32 1
		.amdhsa_uses_dynamic_stack 0
		.amdhsa_enable_private_segment 0
		.amdhsa_system_sgpr_workgroup_id_x 1
		.amdhsa_system_sgpr_workgroup_id_y 0
		.amdhsa_system_sgpr_workgroup_id_z 0
		.amdhsa_system_sgpr_workgroup_info 0
		.amdhsa_system_vgpr_workitem_id 0
		.amdhsa_next_free_vgpr 22
		.amdhsa_next_free_sgpr 12
		.amdhsa_reserve_vcc 1
		.amdhsa_float_round_mode_32 0
		.amdhsa_float_round_mode_16_64 0
		.amdhsa_float_denorm_mode_32 3
		.amdhsa_float_denorm_mode_16_64 3
		.amdhsa_fp16_overflow 0
		.amdhsa_workgroup_processor_mode 1
		.amdhsa_memory_ordered 1
		.amdhsa_forward_progress 1
		.amdhsa_inst_pref_size 6
		.amdhsa_round_robin_scheduling 0
		.amdhsa_exception_fp_ieee_invalid_op 0
		.amdhsa_exception_fp_denorm_src 0
		.amdhsa_exception_fp_ieee_div_zero 0
		.amdhsa_exception_fp_ieee_overflow 0
		.amdhsa_exception_fp_ieee_underflow 0
		.amdhsa_exception_fp_ieee_inexact 0
		.amdhsa_exception_int_div_zero 0
	.end_amdhsa_kernel
	.section	.text._Z6kernelI27subtract_right_partial_tileLj256ELj4ELb0EJPxPiS1_jEEvDpT3_,"axG",@progbits,_Z6kernelI27subtract_right_partial_tileLj256ELj4ELb0EJPxPiS1_jEEvDpT3_,comdat
.Lfunc_end200:
	.size	_Z6kernelI27subtract_right_partial_tileLj256ELj4ELb0EJPxPiS1_jEEvDpT3_, .Lfunc_end200-_Z6kernelI27subtract_right_partial_tileLj256ELj4ELb0EJPxPiS1_jEEvDpT3_
                                        ; -- End function
	.set _Z6kernelI27subtract_right_partial_tileLj256ELj4ELb0EJPxPiS1_jEEvDpT3_.num_vgpr, 22
	.set _Z6kernelI27subtract_right_partial_tileLj256ELj4ELb0EJPxPiS1_jEEvDpT3_.num_agpr, 0
	.set _Z6kernelI27subtract_right_partial_tileLj256ELj4ELb0EJPxPiS1_jEEvDpT3_.numbered_sgpr, 12
	.set _Z6kernelI27subtract_right_partial_tileLj256ELj4ELb0EJPxPiS1_jEEvDpT3_.num_named_barrier, 0
	.set _Z6kernelI27subtract_right_partial_tileLj256ELj4ELb0EJPxPiS1_jEEvDpT3_.private_seg_size, 0
	.set _Z6kernelI27subtract_right_partial_tileLj256ELj4ELb0EJPxPiS1_jEEvDpT3_.uses_vcc, 1
	.set _Z6kernelI27subtract_right_partial_tileLj256ELj4ELb0EJPxPiS1_jEEvDpT3_.uses_flat_scratch, 0
	.set _Z6kernelI27subtract_right_partial_tileLj256ELj4ELb0EJPxPiS1_jEEvDpT3_.has_dyn_sized_stack, 0
	.set _Z6kernelI27subtract_right_partial_tileLj256ELj4ELb0EJPxPiS1_jEEvDpT3_.has_recursion, 0
	.set _Z6kernelI27subtract_right_partial_tileLj256ELj4ELb0EJPxPiS1_jEEvDpT3_.has_indirect_call, 0
	.section	.AMDGPU.csdata,"",@progbits
; Kernel info:
; codeLenInByte = 680
; TotalNumSgprs: 14
; NumVgprs: 22
; ScratchSize: 0
; MemoryBound: 0
; FloatMode: 240
; IeeeMode: 1
; LDSByteSize: 4096 bytes/workgroup (compile time only)
; SGPRBlocks: 0
; VGPRBlocks: 2
; NumSGPRsForWavesPerEU: 14
; NumVGPRsForWavesPerEU: 22
; Occupancy: 16
; WaveLimiterHint : 1
; COMPUTE_PGM_RSRC2:SCRATCH_EN: 0
; COMPUTE_PGM_RSRC2:USER_SGPR: 2
; COMPUTE_PGM_RSRC2:TRAP_HANDLER: 0
; COMPUTE_PGM_RSRC2:TGID_X_EN: 1
; COMPUTE_PGM_RSRC2:TGID_Y_EN: 0
; COMPUTE_PGM_RSRC2:TGID_Z_EN: 0
; COMPUTE_PGM_RSRC2:TIDIG_COMP_CNT: 0
	.section	.text._Z6kernelI27subtract_right_partial_tileLj256ELj8ELb0EJPxPiS1_jEEvDpT3_,"axG",@progbits,_Z6kernelI27subtract_right_partial_tileLj256ELj8ELb0EJPxPiS1_jEEvDpT3_,comdat
	.protected	_Z6kernelI27subtract_right_partial_tileLj256ELj8ELb0EJPxPiS1_jEEvDpT3_ ; -- Begin function _Z6kernelI27subtract_right_partial_tileLj256ELj8ELb0EJPxPiS1_jEEvDpT3_
	.globl	_Z6kernelI27subtract_right_partial_tileLj256ELj8ELb0EJPxPiS1_jEEvDpT3_
	.p2align	8
	.type	_Z6kernelI27subtract_right_partial_tileLj256ELj8ELb0EJPxPiS1_jEEvDpT3_,@function
_Z6kernelI27subtract_right_partial_tileLj256ELj8ELb0EJPxPiS1_jEEvDpT3_: ; @_Z6kernelI27subtract_right_partial_tileLj256ELj8ELb0EJPxPiS1_jEEvDpT3_
; %bb.0:
	s_load_b128 s[8:11], s[0:1], 0x0
	s_lshl_b32 s6, ttmp9, 11
	s_mov_b32 s7, 0
	v_lshlrev_b32_e32 v19, 3, v0
	s_lshl_b64 s[4:5], s[6:7], 3
	s_load_b96 s[0:2], s[0:1], 0x10
	s_delay_alu instid0(VALU_DEP_1)
	v_or_b32_e32 v20, 1, v19
	v_or_b32_e32 v21, 2, v19
	;; [unrolled: 1-line block ×7, first 2 shown]
	v_add_nc_u32_e32 v27, 8, v19
	s_wait_kmcnt 0x0
	s_add_nc_u64 s[8:9], s[8:9], s[4:5]
	s_clause 0x7
	global_load_b64 v[15:16], v19, s[8:9]
	global_load_b64 v[13:14], v19, s[8:9] offset:2048
	global_load_b64 v[11:12], v19, s[8:9] offset:4096
	;; [unrolled: 1-line block ×7, first 2 shown]
	s_cvt_f32_u32 s3, s2
	s_sub_co_i32 s6, 0, s2
	s_delay_alu instid0(SALU_CYCLE_2) | instskip(NEXT) | instid1(TRANS32_DEP_1)
	v_rcp_iflag_f32_e32 v17, s3
	v_readfirstlane_b32 s3, v17
	s_mul_f32 s3, s3, 0x4f7ffffe
	s_wait_alu 0xfffe
	s_delay_alu instid0(SALU_CYCLE_2) | instskip(SKIP_1) | instid1(SALU_CYCLE_2)
	s_cvt_u32_f32 s3, s3
	s_wait_alu 0xfffe
	s_mul_i32 s6, s6, s3
	s_delay_alu instid0(SALU_CYCLE_1) | instskip(NEXT) | instid1(SALU_CYCLE_1)
	s_mul_hi_u32 s6, s3, s6
	s_add_co_i32 s3, s3, s6
	s_mov_b32 s6, ttmp9
	s_wait_alu 0xfffe
	s_lshr_b32 s8, s3, 21
	s_lshl_b64 s[6:7], s[6:7], 2
	s_mul_i32 s9, s8, s2
	s_add_nc_u64 s[6:7], s[10:11], s[6:7]
	s_load_b32 s3, s[6:7], 0x0
	s_sub_co_i32 s7, 0x800, s9
	s_add_co_i32 s9, s8, 1
	s_sub_co_i32 s10, s7, s2
	s_cmp_ge_u32 s7, s2
	s_mov_b32 s6, s0
	s_cselect_b32 s0, s9, s8
	s_cselect_b32 s7, s10, s7
	s_add_co_i32 s8, s0, 1
	s_cmp_ge_u32 s7, s2
	s_mov_b32 s7, s1
	s_cselect_b32 s8, s8, s0
	s_delay_alu instid0(SALU_CYCLE_1)
	s_add_co_i32 s8, s8, 1
	s_branch .LBB201_2
.LBB201_1:                              ;   in Loop: Header=BB201_2 Depth=1
	s_or_b32 exec_lo, exec_lo, s0
	v_cmp_gt_u32_e32 vcc_lo, s3, v20
	v_cmp_gt_u32_e64 s0, s3, v21
	s_add_co_i32 s2, s2, -1
	s_wait_loadcnt 0x0
	s_barrier_signal -1
	s_wait_alu 0xfffd
	v_dual_cndmask_b32 v28, 0, v14 :: v_dual_cndmask_b32 v29, 0, v13
	v_cmp_gt_u32_e32 vcc_lo, s3, v22
	v_cndmask_b32_e64 v31, 0, v11, s0
	v_cndmask_b32_e64 v30, 0, v12, s0
	s_barrier_wait -1
	v_sub_co_u32 v29, s0, v15, v29
	s_wait_alu 0xfffd
	v_dual_cndmask_b32 v32, 0, v10 :: v_dual_cndmask_b32 v33, 0, v9
	v_cmp_gt_u32_e32 vcc_lo, s3, v23
	s_wait_alu 0xf1ff
	v_sub_co_ci_u32_e64 v28, null, v16, v28, s0
	v_sub_co_u32 v31, s0, v13, v31
	s_wait_alu 0xfffd
	v_dual_cndmask_b32 v34, 0, v8 :: v_dual_cndmask_b32 v35, 0, v7
	v_sub_co_u32 v33, vcc_lo, v11, v33
	s_wait_alu 0xfffd
	v_sub_co_ci_u32_e64 v32, null, v12, v32, vcc_lo
	v_cmp_gt_u32_e32 vcc_lo, s3, v24
	s_wait_alu 0xf1ff
	v_sub_co_ci_u32_e64 v30, null, v14, v30, s0
	v_cmp_gt_u32_e64 s0, s3, v25
	v_sub_co_u32 v35, s1, v9, v35
	s_wait_alu 0xfffd
	v_dual_cndmask_b32 v36, 0, v6 :: v_dual_cndmask_b32 v37, 0, v5
	v_cmp_gt_u32_e32 vcc_lo, s3, v26
	s_wait_alu 0xf1ff
	v_cndmask_b32_e64 v39, 0, v3, s0
	v_cndmask_b32_e64 v38, 0, v4, s0
	v_sub_co_ci_u32_e64 v34, null, v10, v34, s1
	s_wait_alu 0xfffd
	v_dual_cndmask_b32 v40, 0, v2 :: v_dual_cndmask_b32 v41, 0, v1
	v_sub_co_u32 v39, vcc_lo, v5, v39
	s_wait_alu 0xfffd
	v_sub_co_ci_u32_e64 v38, null, v6, v38, vcc_lo
	s_delay_alu instid0(VALU_DEP_3)
	v_sub_co_u32 v41, vcc_lo, v3, v41
	s_wait_alu 0xfffd
	v_sub_co_ci_u32_e64 v40, null, v4, v40, vcc_lo
	v_add_co_u32 v15, vcc_lo, v29, v15
	s_wait_alu 0xfffd
	v_add_co_ci_u32_e64 v16, null, v28, v16, vcc_lo
	v_add_co_u32 v13, vcc_lo, v31, v13
	v_sub_co_u32 v37, s0, v7, v37
	s_wait_alu 0xfffd
	v_add_co_ci_u32_e64 v14, null, v30, v14, vcc_lo
	v_add_co_u32 v11, vcc_lo, v33, v11
	s_wait_alu 0xf1ff
	v_sub_co_ci_u32_e64 v36, null, v8, v36, s0
	s_wait_alu 0xfffd
	v_add_co_ci_u32_e64 v12, null, v32, v12, vcc_lo
	v_add_co_u32 v9, vcc_lo, v35, v9
	s_wait_alu 0xfffd
	v_add_co_ci_u32_e64 v10, null, v34, v10, vcc_lo
	v_add_co_u32 v7, vcc_lo, v37, v7
	;; [unrolled: 3-line block ×5, first 2 shown]
	s_add_co_i32 s0, s8, s3
	s_wait_alu 0xfffd
	v_add_co_ci_u32_e64 v2, null, v18, v2, vcc_lo
	s_wait_alu 0xfffe
	s_and_b32 s3, s0, 0x7ff
	s_cmp_lg_u32 s2, 0
	global_inv scope:SCOPE_SE
	s_cbranch_scc0 .LBB201_4
.LBB201_2:                              ; =>This Inner Loop Header: Depth=1
	s_wait_loadcnt 0x0
	v_dual_mov_b32 v18, v2 :: v_dual_mov_b32 v17, v1
	s_mov_b32 s0, exec_lo
	ds_store_b64 v19, v[15:16] offset:2048
	s_wait_dscnt 0x0
	s_barrier_signal -1
	s_barrier_wait -1
	global_inv scope:SCOPE_SE
	s_wait_kmcnt 0x0
	s_wait_alu 0xfffe
	v_cmpx_gt_u32_e64 s3, v27
	s_cbranch_execz .LBB201_1
; %bb.3:                                ;   in Loop: Header=BB201_2 Depth=1
	ds_load_b64 v[17:18], v19 offset:2056
	s_wait_dscnt 0x0
	v_sub_co_u32 v17, vcc_lo, v1, v17
	s_wait_alu 0xfffd
	v_sub_co_ci_u32_e64 v18, null, v2, v18, vcc_lo
	s_branch .LBB201_1
.LBB201_4:
	v_lshlrev_b32_e32 v0, 3, v0
	s_add_nc_u64 s[0:1], s[6:7], s[4:5]
	s_clause 0x7
	global_store_b64 v0, v[15:16], s[0:1]
	global_store_b64 v0, v[13:14], s[0:1] offset:2048
	global_store_b64 v0, v[11:12], s[0:1] offset:4096
	global_store_b64 v0, v[9:10], s[0:1] offset:6144
	global_store_b64 v0, v[7:8], s[0:1] offset:8192
	global_store_b64 v0, v[5:6], s[0:1] offset:10240
	global_store_b64 v0, v[3:4], s[0:1] offset:12288
	global_store_b64 v0, v[1:2], s[0:1] offset:14336
	s_endpgm
	.section	.rodata,"a",@progbits
	.p2align	6, 0x0
	.amdhsa_kernel _Z6kernelI27subtract_right_partial_tileLj256ELj8ELb0EJPxPiS1_jEEvDpT3_
		.amdhsa_group_segment_fixed_size 4096
		.amdhsa_private_segment_fixed_size 0
		.amdhsa_kernarg_size 28
		.amdhsa_user_sgpr_count 2
		.amdhsa_user_sgpr_dispatch_ptr 0
		.amdhsa_user_sgpr_queue_ptr 0
		.amdhsa_user_sgpr_kernarg_segment_ptr 1
		.amdhsa_user_sgpr_dispatch_id 0
		.amdhsa_user_sgpr_private_segment_size 0
		.amdhsa_wavefront_size32 1
		.amdhsa_uses_dynamic_stack 0
		.amdhsa_enable_private_segment 0
		.amdhsa_system_sgpr_workgroup_id_x 1
		.amdhsa_system_sgpr_workgroup_id_y 0
		.amdhsa_system_sgpr_workgroup_id_z 0
		.amdhsa_system_sgpr_workgroup_info 0
		.amdhsa_system_vgpr_workitem_id 0
		.amdhsa_next_free_vgpr 42
		.amdhsa_next_free_sgpr 12
		.amdhsa_reserve_vcc 1
		.amdhsa_float_round_mode_32 0
		.amdhsa_float_round_mode_16_64 0
		.amdhsa_float_denorm_mode_32 3
		.amdhsa_float_denorm_mode_16_64 3
		.amdhsa_fp16_overflow 0
		.amdhsa_workgroup_processor_mode 1
		.amdhsa_memory_ordered 1
		.amdhsa_forward_progress 1
		.amdhsa_inst_pref_size 9
		.amdhsa_round_robin_scheduling 0
		.amdhsa_exception_fp_ieee_invalid_op 0
		.amdhsa_exception_fp_denorm_src 0
		.amdhsa_exception_fp_ieee_div_zero 0
		.amdhsa_exception_fp_ieee_overflow 0
		.amdhsa_exception_fp_ieee_underflow 0
		.amdhsa_exception_fp_ieee_inexact 0
		.amdhsa_exception_int_div_zero 0
	.end_amdhsa_kernel
	.section	.text._Z6kernelI27subtract_right_partial_tileLj256ELj8ELb0EJPxPiS1_jEEvDpT3_,"axG",@progbits,_Z6kernelI27subtract_right_partial_tileLj256ELj8ELb0EJPxPiS1_jEEvDpT3_,comdat
.Lfunc_end201:
	.size	_Z6kernelI27subtract_right_partial_tileLj256ELj8ELb0EJPxPiS1_jEEvDpT3_, .Lfunc_end201-_Z6kernelI27subtract_right_partial_tileLj256ELj8ELb0EJPxPiS1_jEEvDpT3_
                                        ; -- End function
	.set _Z6kernelI27subtract_right_partial_tileLj256ELj8ELb0EJPxPiS1_jEEvDpT3_.num_vgpr, 42
	.set _Z6kernelI27subtract_right_partial_tileLj256ELj8ELb0EJPxPiS1_jEEvDpT3_.num_agpr, 0
	.set _Z6kernelI27subtract_right_partial_tileLj256ELj8ELb0EJPxPiS1_jEEvDpT3_.numbered_sgpr, 12
	.set _Z6kernelI27subtract_right_partial_tileLj256ELj8ELb0EJPxPiS1_jEEvDpT3_.num_named_barrier, 0
	.set _Z6kernelI27subtract_right_partial_tileLj256ELj8ELb0EJPxPiS1_jEEvDpT3_.private_seg_size, 0
	.set _Z6kernelI27subtract_right_partial_tileLj256ELj8ELb0EJPxPiS1_jEEvDpT3_.uses_vcc, 1
	.set _Z6kernelI27subtract_right_partial_tileLj256ELj8ELb0EJPxPiS1_jEEvDpT3_.uses_flat_scratch, 0
	.set _Z6kernelI27subtract_right_partial_tileLj256ELj8ELb0EJPxPiS1_jEEvDpT3_.has_dyn_sized_stack, 0
	.set _Z6kernelI27subtract_right_partial_tileLj256ELj8ELb0EJPxPiS1_jEEvDpT3_.has_recursion, 0
	.set _Z6kernelI27subtract_right_partial_tileLj256ELj8ELb0EJPxPiS1_jEEvDpT3_.has_indirect_call, 0
	.section	.AMDGPU.csdata,"",@progbits
; Kernel info:
; codeLenInByte = 1032
; TotalNumSgprs: 14
; NumVgprs: 42
; ScratchSize: 0
; MemoryBound: 0
; FloatMode: 240
; IeeeMode: 1
; LDSByteSize: 4096 bytes/workgroup (compile time only)
; SGPRBlocks: 0
; VGPRBlocks: 5
; NumSGPRsForWavesPerEU: 14
; NumVGPRsForWavesPerEU: 42
; Occupancy: 16
; WaveLimiterHint : 1
; COMPUTE_PGM_RSRC2:SCRATCH_EN: 0
; COMPUTE_PGM_RSRC2:USER_SGPR: 2
; COMPUTE_PGM_RSRC2:TRAP_HANDLER: 0
; COMPUTE_PGM_RSRC2:TGID_X_EN: 1
; COMPUTE_PGM_RSRC2:TGID_Y_EN: 0
; COMPUTE_PGM_RSRC2:TGID_Z_EN: 0
; COMPUTE_PGM_RSRC2:TIDIG_COMP_CNT: 0
	.section	.text._Z6kernelI27subtract_right_partial_tileLj256ELj16ELb0EJPxPiS1_jEEvDpT3_,"axG",@progbits,_Z6kernelI27subtract_right_partial_tileLj256ELj16ELb0EJPxPiS1_jEEvDpT3_,comdat
	.protected	_Z6kernelI27subtract_right_partial_tileLj256ELj16ELb0EJPxPiS1_jEEvDpT3_ ; -- Begin function _Z6kernelI27subtract_right_partial_tileLj256ELj16ELb0EJPxPiS1_jEEvDpT3_
	.globl	_Z6kernelI27subtract_right_partial_tileLj256ELj16ELb0EJPxPiS1_jEEvDpT3_
	.p2align	8
	.type	_Z6kernelI27subtract_right_partial_tileLj256ELj16ELb0EJPxPiS1_jEEvDpT3_,@function
_Z6kernelI27subtract_right_partial_tileLj256ELj16ELb0EJPxPiS1_jEEvDpT3_: ; @_Z6kernelI27subtract_right_partial_tileLj256ELj16ELb0EJPxPiS1_jEEvDpT3_
; %bb.0:
	s_load_b128 s[4:7], s[0:1], 0x0
	s_lshl_b32 s10, ttmp9, 12
	s_mov_b32 s11, 0
	v_lshlrev_b32_e32 v35, 3, v0
	s_lshl_b64 s[8:9], s[10:11], 3
	s_load_b96 s[0:2], s[0:1], 0x10
	s_mov_b32 s10, ttmp9
	s_delay_alu instid0(SALU_CYCLE_1)
	s_lshl_b64 s[10:11], s[10:11], 2
	s_wait_kmcnt 0x0
	s_add_nc_u64 s[4:5], s[4:5], s[8:9]
	s_add_nc_u64 s[6:7], s[6:7], s[10:11]
	s_clause 0xf
	global_load_b64 v[31:32], v35, s[4:5]
	global_load_b64 v[29:30], v35, s[4:5] offset:2048
	global_load_b64 v[27:28], v35, s[4:5] offset:4096
	;; [unrolled: 1-line block ×15, first 2 shown]
	s_cvt_f32_u32 s3, s2
	s_sub_co_i32 s4, 0, s2
	s_delay_alu instid0(SALU_CYCLE_2) | instskip(NEXT) | instid1(TRANS32_DEP_1)
	v_rcp_iflag_f32_e32 v33, s3
	v_readfirstlane_b32 s3, v33
	v_lshlrev_b32_e32 v33, 4, v0
	s_mul_f32 s3, s3, 0x4f7ffffe
	s_delay_alu instid0(VALU_DEP_1)
	v_or_b32_e32 v36, 1, v33
	v_or_b32_e32 v37, 2, v33
	;; [unrolled: 1-line block ×3, first 2 shown]
	s_wait_alu 0xfffe
	s_cvt_u32_f32 s3, s3
	v_or_b32_e32 v39, 4, v33
	v_or_b32_e32 v40, 5, v33
	;; [unrolled: 1-line block ×3, first 2 shown]
	s_wait_alu 0xfffe
	s_mul_i32 s4, s4, s3
	v_or_b32_e32 v42, 7, v33
	s_mul_hi_u32 s5, s3, s4
	s_mov_b32 s4, s0
	s_add_co_i32 s3, s3, s5
	v_or_b32_e32 v43, 8, v33
	s_wait_alu 0xfffe
	s_lshr_b32 s0, s3, 20
	s_load_b32 s3, s[6:7], 0x0
	s_mul_i32 s5, s0, s2
	s_add_co_i32 s6, s0, 1
	s_sub_co_i32 s5, 0x1000, s5
	v_or_b32_e32 v44, 9, v33
	s_sub_co_i32 s7, s5, s2
	s_cmp_ge_u32 s5, s2
	v_or_b32_e32 v45, 10, v33
	s_cselect_b32 s0, s6, s0
	s_cselect_b32 s5, s7, s5
	s_add_co_i32 s6, s0, 1
	s_cmp_ge_u32 s5, s2
	v_or_b32_e32 v46, 11, v33
	v_or_b32_e32 v47, 12, v33
	;; [unrolled: 1-line block ×5, first 2 shown]
	v_add_nc_u32_e32 v51, 16, v33
	s_cselect_b32 s6, s6, s0
	s_mov_b32 s5, s1
	s_add_co_i32 s6, s6, 1
	s_branch .LBB202_2
.LBB202_1:                              ;   in Loop: Header=BB202_2 Depth=1
	s_or_b32 exec_lo, exec_lo, s0
	v_cmp_gt_u32_e32 vcc_lo, s3, v36
	v_cmp_gt_u32_e64 s0, s3, v37
	s_add_co_i32 s2, s2, -1
	s_wait_loadcnt 0x0
	s_barrier_signal -1
	s_wait_alu 0xfffd
	v_dual_cndmask_b32 v52, 0, v30 :: v_dual_cndmask_b32 v53, 0, v29
	v_cmp_gt_u32_e32 vcc_lo, s3, v38
	v_cndmask_b32_e64 v55, 0, v27, s0
	v_cndmask_b32_e64 v54, 0, v28, s0
	s_barrier_wait -1
	v_sub_co_u32 v53, s0, v31, v53
	s_wait_alu 0xfffd
	v_dual_cndmask_b32 v56, 0, v26 :: v_dual_cndmask_b32 v57, 0, v25
	v_sub_co_u32 v55, vcc_lo, v29, v55
	s_wait_alu 0xf1ff
	v_sub_co_ci_u32_e64 v52, null, v32, v52, s0
	s_wait_alu 0xfffd
	v_sub_co_ci_u32_e64 v54, null, v30, v54, vcc_lo
	v_cmp_gt_u32_e32 vcc_lo, s3, v39
	v_cmp_gt_u32_e64 s0, s3, v40
	v_sub_co_u32 v57, s1, v27, v57
	s_wait_alu 0xf1ff
	v_sub_co_ci_u32_e64 v56, null, v28, v56, s1
	s_wait_alu 0xfffd
	v_dual_cndmask_b32 v58, 0, v24 :: v_dual_cndmask_b32 v59, 0, v23
	v_cndmask_b32_e64 v61, 0, v21, s0
	v_cmp_gt_u32_e32 vcc_lo, s3, v41
	v_cndmask_b32_e64 v60, 0, v22, s0
	global_inv scope:SCOPE_SE
	v_sub_co_u32 v59, s0, v25, v59
	s_wait_alu 0xfffd
	v_dual_cndmask_b32 v62, 0, v20 :: v_dual_cndmask_b32 v63, 0, v19
	v_sub_co_u32 v61, vcc_lo, v23, v61
	s_wait_alu 0xf1ff
	v_sub_co_ci_u32_e64 v58, null, v26, v58, s0
	s_wait_alu 0xfffd
	v_sub_co_ci_u32_e64 v60, null, v24, v60, vcc_lo
	v_cmp_gt_u32_e32 vcc_lo, s3, v42
	v_cmp_gt_u32_e64 s0, s3, v43
	v_sub_co_u32 v63, s1, v21, v63
	s_wait_alu 0xf1ff
	v_sub_co_ci_u32_e64 v62, null, v22, v62, s1
	s_wait_alu 0xfffd
	v_dual_cndmask_b32 v64, 0, v18 :: v_dual_cndmask_b32 v65, 0, v17
	v_cndmask_b32_e64 v67, 0, v15, s0
	v_cmp_gt_u32_e32 vcc_lo, s3, v44
	v_cndmask_b32_e64 v66, 0, v16, s0
	s_delay_alu instid0(VALU_DEP_4)
	v_sub_co_u32 v65, s0, v19, v65
	s_wait_alu 0xfffd
	v_dual_cndmask_b32 v68, 0, v14 :: v_dual_cndmask_b32 v69, 0, v13
	v_sub_co_u32 v67, vcc_lo, v17, v67
	s_wait_alu 0xf1ff
	v_sub_co_ci_u32_e64 v64, null, v20, v64, s0
	s_wait_alu 0xfffd
	v_sub_co_ci_u32_e64 v66, null, v18, v66, vcc_lo
	v_cmp_gt_u32_e32 vcc_lo, s3, v45
	v_cmp_gt_u32_e64 s0, s3, v46
	v_sub_co_u32 v69, s1, v15, v69
	s_wait_alu 0xf1ff
	v_sub_co_ci_u32_e64 v68, null, v16, v68, s1
	s_wait_alu 0xfffd
	v_dual_cndmask_b32 v70, 0, v12 :: v_dual_cndmask_b32 v71, 0, v11
	v_cndmask_b32_e64 v73, 0, v9, s0
	v_cmp_gt_u32_e32 vcc_lo, s3, v47
	v_cndmask_b32_e64 v72, 0, v10, s0
	s_delay_alu instid0(VALU_DEP_4)
	v_sub_co_u32 v71, s0, v13, v71
	s_wait_alu 0xfffd
	v_dual_cndmask_b32 v74, 0, v8 :: v_dual_cndmask_b32 v75, 0, v7
	v_sub_co_u32 v73, vcc_lo, v11, v73
	s_wait_alu 0xfffd
	v_sub_co_ci_u32_e64 v72, null, v12, v72, vcc_lo
	v_cmp_gt_u32_e32 vcc_lo, s3, v48
	s_wait_alu 0xf1ff
	v_sub_co_ci_u32_e64 v70, null, v14, v70, s0
	v_cmp_gt_u32_e64 s0, s3, v49
	v_sub_co_u32 v75, s1, v9, v75
	s_wait_alu 0xfffd
	v_dual_cndmask_b32 v76, 0, v6 :: v_dual_cndmask_b32 v77, 0, v5
	v_cmp_gt_u32_e32 vcc_lo, s3, v50
	s_wait_alu 0xf1ff
	v_cndmask_b32_e64 v79, 0, v3, s0
	v_cndmask_b32_e64 v78, 0, v4, s0
	v_sub_co_ci_u32_e64 v74, null, v10, v74, s1
	s_wait_alu 0xfffd
	v_dual_cndmask_b32 v80, 0, v2 :: v_dual_cndmask_b32 v81, 0, v1
	v_sub_co_u32 v79, vcc_lo, v5, v79
	s_wait_alu 0xfffd
	v_sub_co_ci_u32_e64 v78, null, v6, v78, vcc_lo
	s_delay_alu instid0(VALU_DEP_3)
	v_sub_co_u32 v81, vcc_lo, v3, v81
	s_wait_alu 0xfffd
	v_sub_co_ci_u32_e64 v80, null, v4, v80, vcc_lo
	v_add_co_u32 v31, vcc_lo, v53, v31
	s_wait_alu 0xfffd
	v_add_co_ci_u32_e64 v32, null, v52, v32, vcc_lo
	v_add_co_u32 v29, vcc_lo, v55, v29
	s_wait_alu 0xfffd
	v_add_co_ci_u32_e64 v30, null, v54, v30, vcc_lo
	;; [unrolled: 3-line block ×9, first 2 shown]
	v_add_co_u32 v13, vcc_lo, v71, v13
	v_sub_co_u32 v77, s0, v7, v77
	s_wait_alu 0xfffd
	v_add_co_ci_u32_e64 v14, null, v70, v14, vcc_lo
	v_add_co_u32 v11, vcc_lo, v73, v11
	s_wait_alu 0xf1ff
	v_sub_co_ci_u32_e64 v76, null, v8, v76, s0
	s_wait_alu 0xfffd
	v_add_co_ci_u32_e64 v12, null, v72, v12, vcc_lo
	v_add_co_u32 v9, vcc_lo, v75, v9
	s_wait_alu 0xfffd
	v_add_co_ci_u32_e64 v10, null, v74, v10, vcc_lo
	v_add_co_u32 v7, vcc_lo, v77, v7
	;; [unrolled: 3-line block ×5, first 2 shown]
	s_add_co_i32 s0, s6, s3
	s_wait_alu 0xfffd
	v_add_co_ci_u32_e64 v2, null, v34, v2, vcc_lo
	s_wait_alu 0xfffe
	s_and_b32 s3, s0, 0xfff
	s_cmp_lg_u32 s2, 0
	s_cbranch_scc0 .LBB202_4
.LBB202_2:                              ; =>This Inner Loop Header: Depth=1
	s_wait_loadcnt 0x0
	v_dual_mov_b32 v34, v2 :: v_dual_mov_b32 v33, v1
	s_mov_b32 s0, exec_lo
	ds_store_b64 v35, v[31:32] offset:2048
	s_wait_dscnt 0x0
	s_barrier_signal -1
	s_barrier_wait -1
	global_inv scope:SCOPE_SE
	s_wait_kmcnt 0x0
	s_wait_alu 0xfffe
	v_cmpx_gt_u32_e64 s3, v51
	s_cbranch_execz .LBB202_1
; %bb.3:                                ;   in Loop: Header=BB202_2 Depth=1
	ds_load_b64 v[33:34], v35 offset:2056
	s_wait_dscnt 0x0
	v_sub_co_u32 v33, vcc_lo, v1, v33
	s_wait_alu 0xfffd
	v_sub_co_ci_u32_e64 v34, null, v2, v34, vcc_lo
	s_branch .LBB202_1
.LBB202_4:
	v_lshlrev_b32_e32 v0, 3, v0
	s_add_nc_u64 s[0:1], s[4:5], s[8:9]
	s_clause 0xf
	global_store_b64 v0, v[31:32], s[0:1]
	global_store_b64 v0, v[29:30], s[0:1] offset:2048
	global_store_b64 v0, v[27:28], s[0:1] offset:4096
	;; [unrolled: 1-line block ×15, first 2 shown]
	s_endpgm
	.section	.rodata,"a",@progbits
	.p2align	6, 0x0
	.amdhsa_kernel _Z6kernelI27subtract_right_partial_tileLj256ELj16ELb0EJPxPiS1_jEEvDpT3_
		.amdhsa_group_segment_fixed_size 4096
		.amdhsa_private_segment_fixed_size 0
		.amdhsa_kernarg_size 28
		.amdhsa_user_sgpr_count 2
		.amdhsa_user_sgpr_dispatch_ptr 0
		.amdhsa_user_sgpr_queue_ptr 0
		.amdhsa_user_sgpr_kernarg_segment_ptr 1
		.amdhsa_user_sgpr_dispatch_id 0
		.amdhsa_user_sgpr_private_segment_size 0
		.amdhsa_wavefront_size32 1
		.amdhsa_uses_dynamic_stack 0
		.amdhsa_enable_private_segment 0
		.amdhsa_system_sgpr_workgroup_id_x 1
		.amdhsa_system_sgpr_workgroup_id_y 0
		.amdhsa_system_sgpr_workgroup_id_z 0
		.amdhsa_system_sgpr_workgroup_info 0
		.amdhsa_system_vgpr_workitem_id 0
		.amdhsa_next_free_vgpr 82
		.amdhsa_next_free_sgpr 12
		.amdhsa_reserve_vcc 1
		.amdhsa_float_round_mode_32 0
		.amdhsa_float_round_mode_16_64 0
		.amdhsa_float_denorm_mode_32 3
		.amdhsa_float_denorm_mode_16_64 3
		.amdhsa_fp16_overflow 0
		.amdhsa_workgroup_processor_mode 1
		.amdhsa_memory_ordered 1
		.amdhsa_forward_progress 1
		.amdhsa_inst_pref_size 14
		.amdhsa_round_robin_scheduling 0
		.amdhsa_exception_fp_ieee_invalid_op 0
		.amdhsa_exception_fp_denorm_src 0
		.amdhsa_exception_fp_ieee_div_zero 0
		.amdhsa_exception_fp_ieee_overflow 0
		.amdhsa_exception_fp_ieee_underflow 0
		.amdhsa_exception_fp_ieee_inexact 0
		.amdhsa_exception_int_div_zero 0
	.end_amdhsa_kernel
	.section	.text._Z6kernelI27subtract_right_partial_tileLj256ELj16ELb0EJPxPiS1_jEEvDpT3_,"axG",@progbits,_Z6kernelI27subtract_right_partial_tileLj256ELj16ELb0EJPxPiS1_jEEvDpT3_,comdat
.Lfunc_end202:
	.size	_Z6kernelI27subtract_right_partial_tileLj256ELj16ELb0EJPxPiS1_jEEvDpT3_, .Lfunc_end202-_Z6kernelI27subtract_right_partial_tileLj256ELj16ELb0EJPxPiS1_jEEvDpT3_
                                        ; -- End function
	.set _Z6kernelI27subtract_right_partial_tileLj256ELj16ELb0EJPxPiS1_jEEvDpT3_.num_vgpr, 82
	.set _Z6kernelI27subtract_right_partial_tileLj256ELj16ELb0EJPxPiS1_jEEvDpT3_.num_agpr, 0
	.set _Z6kernelI27subtract_right_partial_tileLj256ELj16ELb0EJPxPiS1_jEEvDpT3_.numbered_sgpr, 12
	.set _Z6kernelI27subtract_right_partial_tileLj256ELj16ELb0EJPxPiS1_jEEvDpT3_.num_named_barrier, 0
	.set _Z6kernelI27subtract_right_partial_tileLj256ELj16ELb0EJPxPiS1_jEEvDpT3_.private_seg_size, 0
	.set _Z6kernelI27subtract_right_partial_tileLj256ELj16ELb0EJPxPiS1_jEEvDpT3_.uses_vcc, 1
	.set _Z6kernelI27subtract_right_partial_tileLj256ELj16ELb0EJPxPiS1_jEEvDpT3_.uses_flat_scratch, 0
	.set _Z6kernelI27subtract_right_partial_tileLj256ELj16ELb0EJPxPiS1_jEEvDpT3_.has_dyn_sized_stack, 0
	.set _Z6kernelI27subtract_right_partial_tileLj256ELj16ELb0EJPxPiS1_jEEvDpT3_.has_recursion, 0
	.set _Z6kernelI27subtract_right_partial_tileLj256ELj16ELb0EJPxPiS1_jEEvDpT3_.has_indirect_call, 0
	.section	.AMDGPU.csdata,"",@progbits
; Kernel info:
; codeLenInByte = 1732
; TotalNumSgprs: 14
; NumVgprs: 82
; ScratchSize: 0
; MemoryBound: 0
; FloatMode: 240
; IeeeMode: 1
; LDSByteSize: 4096 bytes/workgroup (compile time only)
; SGPRBlocks: 0
; VGPRBlocks: 10
; NumSGPRsForWavesPerEU: 14
; NumVGPRsForWavesPerEU: 82
; Occupancy: 16
; WaveLimiterHint : 1
; COMPUTE_PGM_RSRC2:SCRATCH_EN: 0
; COMPUTE_PGM_RSRC2:USER_SGPR: 2
; COMPUTE_PGM_RSRC2:TRAP_HANDLER: 0
; COMPUTE_PGM_RSRC2:TGID_X_EN: 1
; COMPUTE_PGM_RSRC2:TGID_Y_EN: 0
; COMPUTE_PGM_RSRC2:TGID_Z_EN: 0
; COMPUTE_PGM_RSRC2:TIDIG_COMP_CNT: 0
	.section	.text._Z6kernelI27subtract_right_partial_tileLj256ELj32ELb0EJPxPiS1_jEEvDpT3_,"axG",@progbits,_Z6kernelI27subtract_right_partial_tileLj256ELj32ELb0EJPxPiS1_jEEvDpT3_,comdat
	.protected	_Z6kernelI27subtract_right_partial_tileLj256ELj32ELb0EJPxPiS1_jEEvDpT3_ ; -- Begin function _Z6kernelI27subtract_right_partial_tileLj256ELj32ELb0EJPxPiS1_jEEvDpT3_
	.globl	_Z6kernelI27subtract_right_partial_tileLj256ELj32ELb0EJPxPiS1_jEEvDpT3_
	.p2align	8
	.type	_Z6kernelI27subtract_right_partial_tileLj256ELj32ELb0EJPxPiS1_jEEvDpT3_,@function
_Z6kernelI27subtract_right_partial_tileLj256ELj32ELb0EJPxPiS1_jEEvDpT3_: ; @_Z6kernelI27subtract_right_partial_tileLj256ELj32ELb0EJPxPiS1_jEEvDpT3_
; %bb.0:
	s_load_b128 s[4:7], s[0:1], 0x0
	s_lshl_b32 s10, ttmp9, 13
	s_mov_b32 s11, 0
	v_lshlrev_b32_e32 v67, 3, v0
	s_lshl_b64 s[8:9], s[10:11], 3
	s_mov_b32 s10, ttmp9
	v_lshlrev_b32_e32 v66, 5, v0
	s_lshl_b64 s[10:11], s[10:11], 2
	s_delay_alu instid0(VALU_DEP_1)
	v_or_b32_e32 v68, 1, v66
	v_or_b32_e32 v69, 2, v66
	;; [unrolled: 1-line block ×9, first 2 shown]
	s_wait_kmcnt 0x0
	s_add_nc_u64 s[2:3], s[4:5], s[8:9]
	s_add_nc_u64 s[6:7], s[6:7], s[10:11]
	s_clause 0x1f
	global_load_b64 v[15:16], v67, s[2:3]
	global_load_b64 v[13:14], v67, s[2:3] offset:2048
	global_load_b64 v[11:12], v67, s[2:3] offset:4096
	;; [unrolled: 1-line block ×31, first 2 shown]
	s_load_b96 s[0:2], s[0:1], 0x10
	v_or_b32_e32 v77, 10, v66
	v_or_b32_e32 v78, 11, v66
	;; [unrolled: 1-line block ×19, first 2 shown]
	s_wait_kmcnt 0x0
	s_cvt_f32_u32 s3, s2
	s_sub_co_i32 s4, 0, s2
	v_or_b32_e32 v96, 29, v66
	v_or_b32_e32 v97, 30, v66
	v_rcp_iflag_f32_e32 v65, s3
	v_or_b32_e32 v98, 31, v66
	v_add_nc_u32_e32 v99, 32, v66
	s_delay_alu instid0(TRANS32_DEP_1) | instskip(SKIP_2) | instid1(SALU_CYCLE_2)
	v_readfirstlane_b32 s3, v65
	s_mul_f32 s3, s3, 0x4f7ffffe
	s_wait_alu 0xfffe
	s_cvt_u32_f32 s3, s3
	s_wait_alu 0xfffe
	s_delay_alu instid0(SALU_CYCLE_2) | instskip(NEXT) | instid1(SALU_CYCLE_1)
	s_mul_i32 s4, s4, s3
	s_mul_hi_u32 s4, s3, s4
	s_delay_alu instid0(SALU_CYCLE_1)
	s_add_co_i32 s3, s3, s4
	s_mov_b32 s4, s0
	s_wait_alu 0xfffe
	s_lshr_b32 s3, s3, 19
	s_wait_alu 0xfffe
	s_mul_i32 s5, s3, s2
	s_delay_alu instid0(SALU_CYCLE_1)
	s_sub_co_i32 s0, 0x2000, s5
	s_add_co_i32 s5, s3, 1
	s_sub_co_i32 s12, s0, s2
	s_cmp_ge_u32 s0, s2
	s_cselect_b32 s5, s5, s3
	s_load_b32 s3, s[6:7], 0x0
	s_cselect_b32 s0, s12, s0
	s_add_co_i32 s10, s5, 1
	s_cmp_ge_u32 s0, s2
	s_cselect_b32 s6, s10, s5
	s_mov_b32 s5, s1
	s_add_co_i32 s6, s6, 1
	s_branch .LBB203_2
.LBB203_1:                              ;   in Loop: Header=BB203_2 Depth=1
	s_or_b32 exec_lo, exec_lo, s0
	v_cmp_gt_u32_e32 vcc_lo, s3, v68
	v_cmp_gt_u32_e64 s0, s3, v69
	s_add_co_i32 s2, s2, -1
	s_wait_loadcnt 0x0
	s_barrier_signal -1
	s_wait_alu 0xfffd
	v_dual_cndmask_b32 v100, 0, v14 :: v_dual_cndmask_b32 v101, 0, v13
	v_cmp_gt_u32_e32 vcc_lo, s3, v70
	v_cndmask_b32_e64 v103, 0, v11, s0
	v_cndmask_b32_e64 v102, 0, v12, s0
	s_barrier_wait -1
	v_sub_co_u32 v101, s0, v15, v101
	s_wait_alu 0xfffd
	v_dual_cndmask_b32 v104, 0, v10 :: v_dual_cndmask_b32 v105, 0, v9
	v_sub_co_u32 v103, vcc_lo, v13, v103
	s_wait_alu 0xf1ff
	v_sub_co_ci_u32_e64 v100, null, v16, v100, s0
	s_wait_alu 0xfffd
	v_sub_co_ci_u32_e64 v102, null, v14, v102, vcc_lo
	v_cmp_gt_u32_e32 vcc_lo, s3, v71
	v_cmp_gt_u32_e64 s0, s3, v72
	v_sub_co_u32 v105, s1, v11, v105
	s_wait_alu 0xf1ff
	v_sub_co_ci_u32_e64 v104, null, v12, v104, s1
	s_wait_alu 0xfffd
	v_dual_cndmask_b32 v106, 0, v8 :: v_dual_cndmask_b32 v107, 0, v7
	v_cndmask_b32_e64 v109, 0, v5, s0
	v_cmp_gt_u32_e32 vcc_lo, s3, v73
	v_cndmask_b32_e64 v108, 0, v6, s0
	global_inv scope:SCOPE_SE
	v_sub_co_u32 v107, s0, v9, v107
	s_wait_alu 0xfffd
	v_dual_cndmask_b32 v110, 0, v4 :: v_dual_cndmask_b32 v111, 0, v3
	v_sub_co_u32 v109, vcc_lo, v7, v109
	s_wait_alu 0xf1ff
	v_sub_co_ci_u32_e64 v106, null, v10, v106, s0
	s_wait_alu 0xfffd
	v_sub_co_ci_u32_e64 v108, null, v8, v108, vcc_lo
	v_cmp_gt_u32_e32 vcc_lo, s3, v74
	v_cmp_gt_u32_e64 s0, s3, v75
	v_sub_co_u32 v111, s1, v5, v111
	s_wait_alu 0xf1ff
	v_sub_co_ci_u32_e64 v110, null, v6, v110, s1
	s_wait_alu 0xfffd
	v_dual_cndmask_b32 v112, 0, v2 :: v_dual_cndmask_b32 v113, 0, v1
	v_cndmask_b32_e64 v115, 0, v23, s0
	v_cmp_gt_u32_e32 vcc_lo, s3, v76
	v_cndmask_b32_e64 v114, 0, v24, s0
	s_delay_alu instid0(VALU_DEP_4)
	v_sub_co_u32 v113, s0, v3, v113
	s_wait_alu 0xfffd
	v_dual_cndmask_b32 v116, 0, v22 :: v_dual_cndmask_b32 v117, 0, v21
	v_sub_co_u32 v115, vcc_lo, v1, v115
	s_wait_alu 0xfffd
	v_sub_co_ci_u32_e64 v114, null, v2, v114, vcc_lo
	v_cmp_gt_u32_e32 vcc_lo, s3, v77
	s_wait_alu 0xf1ff
	v_sub_co_ci_u32_e64 v112, null, v4, v112, s0
	v_sub_co_u32 v117, s0, v23, v117
	s_wait_alu 0xf1ff
	v_sub_co_ci_u32_e64 v116, null, v24, v116, s0
	s_wait_alu 0xfffd
	v_cndmask_b32_e32 v118, 0, v20, vcc_lo
	v_add_co_u32 v15, s0, v101, v15
	v_cndmask_b32_e32 v101, 0, v19, vcc_lo
	v_cmp_gt_u32_e32 vcc_lo, s3, v78
	s_wait_alu 0xf1ff
	v_add_co_ci_u32_e64 v16, null, v100, v16, s0
	v_add_co_u32 v13, s0, v103, v13
	s_wait_alu 0xfffd
	v_dual_cndmask_b32 v100, 0, v18 :: v_dual_cndmask_b32 v103, 0, v17
	v_sub_co_u32 v101, vcc_lo, v21, v101
	s_wait_alu 0xfffd
	v_sub_co_ci_u32_e64 v118, null, v22, v118, vcc_lo
	s_delay_alu instid0(VALU_DEP_3)
	v_sub_co_u32 v103, vcc_lo, v19, v103
	s_wait_alu 0xfffd
	v_sub_co_ci_u32_e64 v100, null, v20, v100, vcc_lo
	v_cmp_gt_u32_e32 vcc_lo, s3, v79
	s_wait_alu 0xf1ff
	v_add_co_ci_u32_e64 v14, null, v102, v14, s0
	v_add_co_u32 v11, s0, v105, v11
	s_wait_alu 0xfffd
	v_dual_cndmask_b32 v102, 0, v30 :: v_dual_cndmask_b32 v105, 0, v29
	v_cmp_gt_u32_e32 vcc_lo, s3, v80
	s_wait_alu 0xf1ff
	v_add_co_ci_u32_e64 v12, null, v104, v12, s0
	v_add_co_u32 v9, s0, v107, v9
	s_wait_alu 0xfffd
	v_dual_cndmask_b32 v104, 0, v28 :: v_dual_cndmask_b32 v107, 0, v27
	v_sub_co_u32 v105, vcc_lo, v17, v105
	s_wait_alu 0xfffd
	v_sub_co_ci_u32_e64 v102, null, v18, v102, vcc_lo
	s_delay_alu instid0(VALU_DEP_3)
	v_sub_co_u32 v107, vcc_lo, v29, v107
	s_wait_alu 0xfffd
	v_sub_co_ci_u32_e64 v104, null, v30, v104, vcc_lo
	v_cmp_gt_u32_e32 vcc_lo, s3, v81
	s_wait_alu 0xf1ff
	v_add_co_ci_u32_e64 v10, null, v106, v10, s0
	v_add_co_u32 v7, s0, v109, v7
	s_wait_alu 0xfffd
	v_dual_cndmask_b32 v106, 0, v26 :: v_dual_cndmask_b32 v109, 0, v25
	v_cmp_gt_u32_e32 vcc_lo, s3, v82
	s_wait_alu 0xf1ff
	v_add_co_ci_u32_e64 v8, null, v108, v8, s0
	v_add_co_u32 v5, s0, v111, v5
	s_wait_alu 0xfffd
	v_dual_cndmask_b32 v108, 0, v36 :: v_dual_cndmask_b32 v111, 0, v35
	v_sub_co_u32 v109, vcc_lo, v27, v109
	s_wait_alu 0xfffd
	v_sub_co_ci_u32_e64 v106, null, v28, v106, vcc_lo
	s_delay_alu instid0(VALU_DEP_3)
	v_sub_co_u32 v111, vcc_lo, v25, v111
	s_wait_alu 0xfffd
	v_sub_co_ci_u32_e64 v108, null, v26, v108, vcc_lo
	v_cmp_gt_u32_e32 vcc_lo, s3, v83
	s_wait_alu 0xf1ff
	v_add_co_ci_u32_e64 v6, null, v110, v6, s0
	v_add_co_u32 v3, s0, v113, v3
	s_wait_alu 0xfffd
	v_dual_cndmask_b32 v110, 0, v34 :: v_dual_cndmask_b32 v113, 0, v33
	v_cmp_gt_u32_e32 vcc_lo, s3, v84
	s_wait_alu 0xf1ff
	v_add_co_ci_u32_e64 v4, null, v112, v4, s0
	v_add_co_u32 v1, s0, v115, v1
	s_wait_alu 0xfffd
	v_dual_cndmask_b32 v112, 0, v32 :: v_dual_cndmask_b32 v115, 0, v31
	v_sub_co_u32 v113, vcc_lo, v35, v113
	s_wait_alu 0xfffd
	v_sub_co_ci_u32_e64 v110, null, v36, v110, vcc_lo
	s_delay_alu instid0(VALU_DEP_3)
	v_sub_co_u32 v115, vcc_lo, v33, v115
	s_wait_alu 0xfffd
	v_sub_co_ci_u32_e64 v112, null, v34, v112, vcc_lo
	v_cmp_gt_u32_e32 vcc_lo, s3, v85
	s_wait_alu 0xf1ff
	v_add_co_ci_u32_e64 v2, null, v114, v2, s0
	v_add_co_u32 v23, s0, v117, v23
	s_wait_alu 0xfffd
	v_dual_cndmask_b32 v114, 0, v38 :: v_dual_cndmask_b32 v117, 0, v37
	v_cmp_gt_u32_e32 vcc_lo, s3, v86
	s_wait_alu 0xf1ff
	v_add_co_ci_u32_e64 v24, null, v116, v24, s0
	v_add_co_u32 v21, s0, v101, v21
	s_wait_alu 0xfffd
	v_dual_cndmask_b32 v116, 0, v40 :: v_dual_cndmask_b32 v101, 0, v39
	v_sub_co_u32 v117, vcc_lo, v31, v117
	s_wait_alu 0xfffd
	v_sub_co_ci_u32_e64 v114, null, v32, v114, vcc_lo
	s_delay_alu instid0(VALU_DEP_3)
	v_sub_co_u32 v101, vcc_lo, v37, v101
	s_wait_alu 0xfffd
	v_sub_co_ci_u32_e64 v116, null, v38, v116, vcc_lo
	v_cmp_gt_u32_e32 vcc_lo, s3, v87
	s_wait_alu 0xf1ff
	v_add_co_ci_u32_e64 v22, null, v118, v22, s0
	v_add_co_u32 v19, s0, v103, v19
	s_wait_alu 0xfffd
	v_dual_cndmask_b32 v118, 0, v42 :: v_dual_cndmask_b32 v103, 0, v41
	v_cmp_gt_u32_e32 vcc_lo, s3, v88
	s_wait_alu 0xf1ff
	v_add_co_ci_u32_e64 v20, null, v100, v20, s0
	v_add_co_u32 v17, s0, v105, v17
	s_wait_alu 0xfffd
	v_dual_cndmask_b32 v100, 0, v44 :: v_dual_cndmask_b32 v105, 0, v43
	v_sub_co_u32 v103, vcc_lo, v39, v103
	s_wait_alu 0xfffd
	v_sub_co_ci_u32_e64 v118, null, v40, v118, vcc_lo
	s_delay_alu instid0(VALU_DEP_3)
	v_sub_co_u32 v105, vcc_lo, v41, v105
	s_wait_alu 0xfffd
	v_sub_co_ci_u32_e64 v100, null, v42, v100, vcc_lo
	v_cmp_gt_u32_e32 vcc_lo, s3, v89
	s_wait_alu 0xf1ff
	v_add_co_ci_u32_e64 v18, null, v102, v18, s0
	v_add_co_u32 v29, s0, v107, v29
	s_wait_alu 0xfffd
	v_dual_cndmask_b32 v102, 0, v46 :: v_dual_cndmask_b32 v107, 0, v45
	v_cmp_gt_u32_e32 vcc_lo, s3, v90
	s_wait_alu 0xf1ff
	v_add_co_ci_u32_e64 v30, null, v104, v30, s0
	v_add_co_u32 v27, s0, v109, v27
	s_wait_alu 0xfffd
	v_dual_cndmask_b32 v104, 0, v48 :: v_dual_cndmask_b32 v109, 0, v47
	v_sub_co_u32 v107, vcc_lo, v43, v107
	s_wait_alu 0xfffd
	v_sub_co_ci_u32_e64 v102, null, v44, v102, vcc_lo
	s_delay_alu instid0(VALU_DEP_3)
	v_sub_co_u32 v109, vcc_lo, v45, v109
	s_wait_alu 0xfffd
	v_sub_co_ci_u32_e64 v104, null, v46, v104, vcc_lo
	v_cmp_gt_u32_e32 vcc_lo, s3, v91
	s_wait_alu 0xf1ff
	v_add_co_ci_u32_e64 v28, null, v106, v28, s0
	v_add_co_u32 v25, s0, v111, v25
	s_wait_alu 0xfffd
	v_dual_cndmask_b32 v106, 0, v50 :: v_dual_cndmask_b32 v111, 0, v49
	v_cmp_gt_u32_e32 vcc_lo, s3, v92
	s_wait_alu 0xf1ff
	v_add_co_ci_u32_e64 v26, null, v108, v26, s0
	v_add_co_u32 v35, s0, v113, v35
	s_wait_alu 0xfffd
	v_dual_cndmask_b32 v108, 0, v64 :: v_dual_cndmask_b32 v113, 0, v63
	v_sub_co_u32 v111, vcc_lo, v47, v111
	s_wait_alu 0xfffd
	v_sub_co_ci_u32_e64 v106, null, v48, v106, vcc_lo
	s_delay_alu instid0(VALU_DEP_3)
	v_sub_co_u32 v113, vcc_lo, v49, v113
	s_wait_alu 0xfffd
	v_sub_co_ci_u32_e64 v108, null, v50, v108, vcc_lo
	v_cmp_gt_u32_e32 vcc_lo, s3, v93
	s_wait_alu 0xf1ff
	v_add_co_ci_u32_e64 v36, null, v110, v36, s0
	v_add_co_u32 v33, s0, v115, v33
	s_wait_alu 0xfffd
	v_dual_cndmask_b32 v110, 0, v62 :: v_dual_cndmask_b32 v115, 0, v61
	v_cmp_gt_u32_e32 vcc_lo, s3, v94
	s_wait_alu 0xf1ff
	v_add_co_ci_u32_e64 v34, null, v112, v34, s0
	v_add_co_u32 v31, s0, v117, v31
	s_wait_alu 0xfffd
	v_dual_cndmask_b32 v112, 0, v60 :: v_dual_cndmask_b32 v117, 0, v59
	v_sub_co_u32 v115, vcc_lo, v63, v115
	s_wait_alu 0xfffd
	v_sub_co_ci_u32_e64 v110, null, v64, v110, vcc_lo
	s_delay_alu instid0(VALU_DEP_3)
	v_sub_co_u32 v117, vcc_lo, v61, v117
	s_wait_alu 0xfffd
	v_sub_co_ci_u32_e64 v112, null, v62, v112, vcc_lo
	v_cmp_gt_u32_e32 vcc_lo, s3, v95
	s_wait_alu 0xf1ff
	v_add_co_ci_u32_e64 v32, null, v114, v32, s0
	v_add_co_u32 v37, s0, v101, v37
	s_wait_alu 0xfffd
	v_dual_cndmask_b32 v114, 0, v58 :: v_dual_cndmask_b32 v101, 0, v57
	v_cmp_gt_u32_e32 vcc_lo, s3, v96
	s_wait_alu 0xf1ff
	v_add_co_ci_u32_e64 v38, null, v116, v38, s0
	v_add_co_u32 v39, s0, v103, v39
	s_wait_alu 0xfffd
	v_dual_cndmask_b32 v116, 0, v56 :: v_dual_cndmask_b32 v103, 0, v55
	v_sub_co_u32 v101, vcc_lo, v59, v101
	s_wait_alu 0xfffd
	v_sub_co_ci_u32_e64 v114, null, v60, v114, vcc_lo
	s_delay_alu instid0(VALU_DEP_3)
	v_sub_co_u32 v103, vcc_lo, v57, v103
	s_wait_alu 0xfffd
	v_sub_co_ci_u32_e64 v116, null, v58, v116, vcc_lo
	v_cmp_gt_u32_e32 vcc_lo, s3, v97
	s_wait_alu 0xf1ff
	v_add_co_ci_u32_e64 v40, null, v118, v40, s0
	v_add_co_u32 v41, s0, v105, v41
	s_wait_alu 0xfffd
	v_dual_cndmask_b32 v118, 0, v54 :: v_dual_cndmask_b32 v105, 0, v53
	v_cmp_gt_u32_e32 vcc_lo, s3, v98
	s_wait_alu 0xf1ff
	v_add_co_ci_u32_e64 v42, null, v100, v42, s0
	v_add_co_u32 v43, s0, v107, v43
	s_wait_alu 0xfffd
	v_dual_cndmask_b32 v100, 0, v52 :: v_dual_cndmask_b32 v107, 0, v51
	v_sub_co_u32 v105, vcc_lo, v55, v105
	s_wait_alu 0xfffd
	v_sub_co_ci_u32_e64 v118, null, v56, v118, vcc_lo
	s_delay_alu instid0(VALU_DEP_3)
	v_sub_co_u32 v107, vcc_lo, v53, v107
	s_wait_alu 0xfffd
	v_sub_co_ci_u32_e64 v100, null, v54, v100, vcc_lo
	v_add_co_u32 v45, vcc_lo, v109, v45
	s_wait_alu 0xfffd
	v_add_co_ci_u32_e64 v46, null, v104, v46, vcc_lo
	v_add_co_u32 v47, vcc_lo, v111, v47
	s_wait_alu 0xfffd
	v_add_co_ci_u32_e64 v48, null, v106, v48, vcc_lo
	;; [unrolled: 3-line block ×9, first 2 shown]
	v_add_co_u32 v51, vcc_lo, v65, v51
	s_wait_alu 0xf1ff
	v_add_co_ci_u32_e64 v44, null, v102, v44, s0
	s_add_co_i32 s0, s6, s3
	s_wait_alu 0xfffd
	v_add_co_ci_u32_e64 v52, null, v66, v52, vcc_lo
	s_wait_alu 0xfffe
	s_and_b32 s3, s0, 0x1fff
	s_cmp_lg_u32 s2, 0
	s_cbranch_scc0 .LBB203_4
.LBB203_2:                              ; =>This Inner Loop Header: Depth=1
	s_wait_loadcnt 0x0
	v_dual_mov_b32 v66, v52 :: v_dual_mov_b32 v65, v51
	s_mov_b32 s0, exec_lo
	ds_store_b64 v67, v[15:16] offset:2048
	s_wait_dscnt 0x0
	s_barrier_signal -1
	s_barrier_wait -1
	global_inv scope:SCOPE_SE
	s_wait_kmcnt 0x0
	s_wait_alu 0xfffe
	v_cmpx_gt_u32_e64 s3, v99
	s_cbranch_execz .LBB203_1
; %bb.3:                                ;   in Loop: Header=BB203_2 Depth=1
	ds_load_b64 v[65:66], v67 offset:2056
	s_wait_dscnt 0x0
	v_sub_co_u32 v65, vcc_lo, v51, v65
	s_wait_alu 0xfffd
	v_sub_co_ci_u32_e64 v66, null, v52, v66, vcc_lo
	s_branch .LBB203_1
.LBB203_4:
	v_lshlrev_b32_e32 v0, 3, v0
	s_add_nc_u64 s[0:1], s[4:5], s[8:9]
	s_clause 0x1f
	global_store_b64 v0, v[15:16], s[0:1]
	global_store_b64 v0, v[13:14], s[0:1] offset:2048
	global_store_b64 v0, v[11:12], s[0:1] offset:4096
	;; [unrolled: 1-line block ×31, first 2 shown]
	s_nop 0
	s_sendmsg sendmsg(MSG_DEALLOC_VGPRS)
	s_endpgm
	.section	.rodata,"a",@progbits
	.p2align	6, 0x0
	.amdhsa_kernel _Z6kernelI27subtract_right_partial_tileLj256ELj32ELb0EJPxPiS1_jEEvDpT3_
		.amdhsa_group_segment_fixed_size 4096
		.amdhsa_private_segment_fixed_size 0
		.amdhsa_kernarg_size 28
		.amdhsa_user_sgpr_count 2
		.amdhsa_user_sgpr_dispatch_ptr 0
		.amdhsa_user_sgpr_queue_ptr 0
		.amdhsa_user_sgpr_kernarg_segment_ptr 1
		.amdhsa_user_sgpr_dispatch_id 0
		.amdhsa_user_sgpr_private_segment_size 0
		.amdhsa_wavefront_size32 1
		.amdhsa_uses_dynamic_stack 0
		.amdhsa_enable_private_segment 0
		.amdhsa_system_sgpr_workgroup_id_x 1
		.amdhsa_system_sgpr_workgroup_id_y 0
		.amdhsa_system_sgpr_workgroup_id_z 0
		.amdhsa_system_sgpr_workgroup_info 0
		.amdhsa_system_vgpr_workitem_id 0
		.amdhsa_next_free_vgpr 119
		.amdhsa_next_free_sgpr 13
		.amdhsa_reserve_vcc 1
		.amdhsa_float_round_mode_32 0
		.amdhsa_float_round_mode_16_64 0
		.amdhsa_float_denorm_mode_32 3
		.amdhsa_float_denorm_mode_16_64 3
		.amdhsa_fp16_overflow 0
		.amdhsa_workgroup_processor_mode 1
		.amdhsa_memory_ordered 1
		.amdhsa_forward_progress 1
		.amdhsa_inst_pref_size 25
		.amdhsa_round_robin_scheduling 0
		.amdhsa_exception_fp_ieee_invalid_op 0
		.amdhsa_exception_fp_denorm_src 0
		.amdhsa_exception_fp_ieee_div_zero 0
		.amdhsa_exception_fp_ieee_overflow 0
		.amdhsa_exception_fp_ieee_underflow 0
		.amdhsa_exception_fp_ieee_inexact 0
		.amdhsa_exception_int_div_zero 0
	.end_amdhsa_kernel
	.section	.text._Z6kernelI27subtract_right_partial_tileLj256ELj32ELb0EJPxPiS1_jEEvDpT3_,"axG",@progbits,_Z6kernelI27subtract_right_partial_tileLj256ELj32ELb0EJPxPiS1_jEEvDpT3_,comdat
.Lfunc_end203:
	.size	_Z6kernelI27subtract_right_partial_tileLj256ELj32ELb0EJPxPiS1_jEEvDpT3_, .Lfunc_end203-_Z6kernelI27subtract_right_partial_tileLj256ELj32ELb0EJPxPiS1_jEEvDpT3_
                                        ; -- End function
	.set _Z6kernelI27subtract_right_partial_tileLj256ELj32ELb0EJPxPiS1_jEEvDpT3_.num_vgpr, 119
	.set _Z6kernelI27subtract_right_partial_tileLj256ELj32ELb0EJPxPiS1_jEEvDpT3_.num_agpr, 0
	.set _Z6kernelI27subtract_right_partial_tileLj256ELj32ELb0EJPxPiS1_jEEvDpT3_.numbered_sgpr, 13
	.set _Z6kernelI27subtract_right_partial_tileLj256ELj32ELb0EJPxPiS1_jEEvDpT3_.num_named_barrier, 0
	.set _Z6kernelI27subtract_right_partial_tileLj256ELj32ELb0EJPxPiS1_jEEvDpT3_.private_seg_size, 0
	.set _Z6kernelI27subtract_right_partial_tileLj256ELj32ELb0EJPxPiS1_jEEvDpT3_.uses_vcc, 1
	.set _Z6kernelI27subtract_right_partial_tileLj256ELj32ELb0EJPxPiS1_jEEvDpT3_.uses_flat_scratch, 0
	.set _Z6kernelI27subtract_right_partial_tileLj256ELj32ELb0EJPxPiS1_jEEvDpT3_.has_dyn_sized_stack, 0
	.set _Z6kernelI27subtract_right_partial_tileLj256ELj32ELb0EJPxPiS1_jEEvDpT3_.has_recursion, 0
	.set _Z6kernelI27subtract_right_partial_tileLj256ELj32ELb0EJPxPiS1_jEEvDpT3_.has_indirect_call, 0
	.section	.AMDGPU.csdata,"",@progbits
; Kernel info:
; codeLenInByte = 3120
; TotalNumSgprs: 15
; NumVgprs: 119
; ScratchSize: 0
; MemoryBound: 0
; FloatMode: 240
; IeeeMode: 1
; LDSByteSize: 4096 bytes/workgroup (compile time only)
; SGPRBlocks: 0
; VGPRBlocks: 14
; NumSGPRsForWavesPerEU: 15
; NumVGPRsForWavesPerEU: 119
; Occupancy: 12
; WaveLimiterHint : 1
; COMPUTE_PGM_RSRC2:SCRATCH_EN: 0
; COMPUTE_PGM_RSRC2:USER_SGPR: 2
; COMPUTE_PGM_RSRC2:TRAP_HANDLER: 0
; COMPUTE_PGM_RSRC2:TGID_X_EN: 1
; COMPUTE_PGM_RSRC2:TGID_Y_EN: 0
; COMPUTE_PGM_RSRC2:TGID_Z_EN: 0
; COMPUTE_PGM_RSRC2:TIDIG_COMP_CNT: 0
	.section	.text._Z6kernelI27subtract_right_partial_tileLj256ELj1ELb0EJPdPiS1_jEEvDpT3_,"axG",@progbits,_Z6kernelI27subtract_right_partial_tileLj256ELj1ELb0EJPdPiS1_jEEvDpT3_,comdat
	.protected	_Z6kernelI27subtract_right_partial_tileLj256ELj1ELb0EJPdPiS1_jEEvDpT3_ ; -- Begin function _Z6kernelI27subtract_right_partial_tileLj256ELj1ELb0EJPdPiS1_jEEvDpT3_
	.globl	_Z6kernelI27subtract_right_partial_tileLj256ELj1ELb0EJPdPiS1_jEEvDpT3_
	.p2align	8
	.type	_Z6kernelI27subtract_right_partial_tileLj256ELj1ELb0EJPdPiS1_jEEvDpT3_,@function
_Z6kernelI27subtract_right_partial_tileLj256ELj1ELb0EJPdPiS1_jEEvDpT3_: ; @_Z6kernelI27subtract_right_partial_tileLj256ELj1ELb0EJPdPiS1_jEEvDpT3_
; %bb.0:
	s_load_b128 s[8:11], s[0:1], 0x0
	s_lshl_b32 s6, ttmp9, 8
	s_mov_b32 s7, 0
	v_lshlrev_b32_e32 v5, 3, v0
	s_lshl_b64 s[4:5], s[6:7], 3
	s_load_b96 s[0:2], s[0:1], 0x10
	s_mov_b32 s6, ttmp9
	v_add_nc_u32_e32 v6, 1, v0
	s_lshl_b64 s[6:7], s[6:7], 2
	s_wait_kmcnt 0x0
	s_add_nc_u64 s[8:9], s[8:9], s[4:5]
	s_add_nc_u64 s[6:7], s[10:11], s[6:7]
	global_load_b64 v[1:2], v5, s[8:9]
	s_cvt_f32_u32 s3, s2
	s_delay_alu instid0(SALU_CYCLE_3) | instskip(NEXT) | instid1(TRANS32_DEP_1)
	v_rcp_iflag_f32_e32 v3, s3
	v_readfirstlane_b32 s3, v3
	s_mul_f32 s3, s3, 0x4f7ffffe
	s_wait_alu 0xfffe
	s_delay_alu instid0(SALU_CYCLE_2) | instskip(SKIP_2) | instid1(SALU_CYCLE_1)
	s_cvt_u32_f32 s8, s3
	s_sub_co_i32 s3, 0, s2
	s_wait_alu 0xfffe
	s_mul_i32 s3, s3, s8
	s_wait_alu 0xfffe
	s_mul_hi_u32 s9, s8, s3
	s_load_b32 s3, s[6:7], 0x0
	s_add_co_i32 s8, s8, s9
	s_delay_alu instid0(SALU_CYCLE_1) | instskip(NEXT) | instid1(SALU_CYCLE_1)
	s_lshr_b32 s6, s8, 24
	s_mul_i32 s7, s6, s2
	s_add_co_i32 s8, s6, 1
	s_sub_co_i32 s7, 0x100, s7
	s_delay_alu instid0(SALU_CYCLE_1)
	s_sub_co_i32 s9, s7, s2
	s_cmp_ge_u32 s7, s2
	s_cselect_b32 s6, s8, s6
	s_cselect_b32 s7, s9, s7
	s_add_co_i32 s8, s6, 1
	s_cmp_ge_u32 s7, s2
	s_cselect_b32 s6, s8, s6
	s_delay_alu instid0(SALU_CYCLE_1)
	s_add_co_i32 s6, s6, 1
	s_branch .LBB204_2
.LBB204_1:                              ;   in Loop: Header=BB204_2 Depth=1
	s_or_b32 exec_lo, exec_lo, s7
	s_delay_alu instid0(VALU_DEP_1)
	v_add_f64_e32 v[1:2], v[1:2], v[3:4]
	s_add_co_i32 s3, s6, s3
	s_add_co_i32 s2, s2, -1
	s_wait_alu 0xfffe
	s_and_b32 s3, s3, 0xff
	s_cmp_lg_u32 s2, 0
	s_wait_loadcnt 0x0
	s_barrier_signal -1
	s_barrier_wait -1
	global_inv scope:SCOPE_SE
	s_cbranch_scc0 .LBB204_4
.LBB204_2:                              ; =>This Inner Loop Header: Depth=1
	s_wait_loadcnt 0x0
	v_dual_mov_b32 v4, v2 :: v_dual_mov_b32 v3, v1
	s_mov_b32 s7, exec_lo
	ds_store_b64 v5, v[1:2] offset:2048
	s_wait_dscnt 0x0
	s_barrier_signal -1
	s_barrier_wait -1
	global_inv scope:SCOPE_SE
	s_wait_kmcnt 0x0
	s_wait_alu 0xfffe
	v_cmpx_gt_u32_e64 s3, v6
	s_cbranch_execz .LBB204_1
; %bb.3:                                ;   in Loop: Header=BB204_2 Depth=1
	ds_load_b64 v[3:4], v5 offset:2056
	s_wait_dscnt 0x0
	v_add_f64_e64 v[3:4], v[1:2], -v[3:4]
	s_branch .LBB204_1
.LBB204_4:
	v_lshlrev_b32_e32 v0, 3, v0
	s_add_nc_u64 s[0:1], s[0:1], s[4:5]
	global_store_b64 v0, v[1:2], s[0:1]
	s_endpgm
	.section	.rodata,"a",@progbits
	.p2align	6, 0x0
	.amdhsa_kernel _Z6kernelI27subtract_right_partial_tileLj256ELj1ELb0EJPdPiS1_jEEvDpT3_
		.amdhsa_group_segment_fixed_size 4096
		.amdhsa_private_segment_fixed_size 0
		.amdhsa_kernarg_size 28
		.amdhsa_user_sgpr_count 2
		.amdhsa_user_sgpr_dispatch_ptr 0
		.amdhsa_user_sgpr_queue_ptr 0
		.amdhsa_user_sgpr_kernarg_segment_ptr 1
		.amdhsa_user_sgpr_dispatch_id 0
		.amdhsa_user_sgpr_private_segment_size 0
		.amdhsa_wavefront_size32 1
		.amdhsa_uses_dynamic_stack 0
		.amdhsa_enable_private_segment 0
		.amdhsa_system_sgpr_workgroup_id_x 1
		.amdhsa_system_sgpr_workgroup_id_y 0
		.amdhsa_system_sgpr_workgroup_id_z 0
		.amdhsa_system_sgpr_workgroup_info 0
		.amdhsa_system_vgpr_workitem_id 0
		.amdhsa_next_free_vgpr 7
		.amdhsa_next_free_sgpr 12
		.amdhsa_reserve_vcc 0
		.amdhsa_float_round_mode_32 0
		.amdhsa_float_round_mode_16_64 0
		.amdhsa_float_denorm_mode_32 3
		.amdhsa_float_denorm_mode_16_64 3
		.amdhsa_fp16_overflow 0
		.amdhsa_workgroup_processor_mode 1
		.amdhsa_memory_ordered 1
		.amdhsa_forward_progress 1
		.amdhsa_inst_pref_size 3
		.amdhsa_round_robin_scheduling 0
		.amdhsa_exception_fp_ieee_invalid_op 0
		.amdhsa_exception_fp_denorm_src 0
		.amdhsa_exception_fp_ieee_div_zero 0
		.amdhsa_exception_fp_ieee_overflow 0
		.amdhsa_exception_fp_ieee_underflow 0
		.amdhsa_exception_fp_ieee_inexact 0
		.amdhsa_exception_int_div_zero 0
	.end_amdhsa_kernel
	.section	.text._Z6kernelI27subtract_right_partial_tileLj256ELj1ELb0EJPdPiS1_jEEvDpT3_,"axG",@progbits,_Z6kernelI27subtract_right_partial_tileLj256ELj1ELb0EJPdPiS1_jEEvDpT3_,comdat
.Lfunc_end204:
	.size	_Z6kernelI27subtract_right_partial_tileLj256ELj1ELb0EJPdPiS1_jEEvDpT3_, .Lfunc_end204-_Z6kernelI27subtract_right_partial_tileLj256ELj1ELb0EJPdPiS1_jEEvDpT3_
                                        ; -- End function
	.set _Z6kernelI27subtract_right_partial_tileLj256ELj1ELb0EJPdPiS1_jEEvDpT3_.num_vgpr, 7
	.set _Z6kernelI27subtract_right_partial_tileLj256ELj1ELb0EJPdPiS1_jEEvDpT3_.num_agpr, 0
	.set _Z6kernelI27subtract_right_partial_tileLj256ELj1ELb0EJPdPiS1_jEEvDpT3_.numbered_sgpr, 12
	.set _Z6kernelI27subtract_right_partial_tileLj256ELj1ELb0EJPdPiS1_jEEvDpT3_.num_named_barrier, 0
	.set _Z6kernelI27subtract_right_partial_tileLj256ELj1ELb0EJPdPiS1_jEEvDpT3_.private_seg_size, 0
	.set _Z6kernelI27subtract_right_partial_tileLj256ELj1ELb0EJPdPiS1_jEEvDpT3_.uses_vcc, 0
	.set _Z6kernelI27subtract_right_partial_tileLj256ELj1ELb0EJPdPiS1_jEEvDpT3_.uses_flat_scratch, 0
	.set _Z6kernelI27subtract_right_partial_tileLj256ELj1ELb0EJPdPiS1_jEEvDpT3_.has_dyn_sized_stack, 0
	.set _Z6kernelI27subtract_right_partial_tileLj256ELj1ELb0EJPdPiS1_jEEvDpT3_.has_recursion, 0
	.set _Z6kernelI27subtract_right_partial_tileLj256ELj1ELb0EJPdPiS1_jEEvDpT3_.has_indirect_call, 0
	.section	.AMDGPU.csdata,"",@progbits
; Kernel info:
; codeLenInByte = 384
; TotalNumSgprs: 12
; NumVgprs: 7
; ScratchSize: 0
; MemoryBound: 0
; FloatMode: 240
; IeeeMode: 1
; LDSByteSize: 4096 bytes/workgroup (compile time only)
; SGPRBlocks: 0
; VGPRBlocks: 0
; NumSGPRsForWavesPerEU: 12
; NumVGPRsForWavesPerEU: 7
; Occupancy: 16
; WaveLimiterHint : 0
; COMPUTE_PGM_RSRC2:SCRATCH_EN: 0
; COMPUTE_PGM_RSRC2:USER_SGPR: 2
; COMPUTE_PGM_RSRC2:TRAP_HANDLER: 0
; COMPUTE_PGM_RSRC2:TGID_X_EN: 1
; COMPUTE_PGM_RSRC2:TGID_Y_EN: 0
; COMPUTE_PGM_RSRC2:TGID_Z_EN: 0
; COMPUTE_PGM_RSRC2:TIDIG_COMP_CNT: 0
	.section	.text._Z6kernelI27subtract_right_partial_tileLj256ELj3ELb0EJPdPiS1_jEEvDpT3_,"axG",@progbits,_Z6kernelI27subtract_right_partial_tileLj256ELj3ELb0EJPdPiS1_jEEvDpT3_,comdat
	.protected	_Z6kernelI27subtract_right_partial_tileLj256ELj3ELb0EJPdPiS1_jEEvDpT3_ ; -- Begin function _Z6kernelI27subtract_right_partial_tileLj256ELj3ELb0EJPdPiS1_jEEvDpT3_
	.globl	_Z6kernelI27subtract_right_partial_tileLj256ELj3ELb0EJPdPiS1_jEEvDpT3_
	.p2align	8
	.type	_Z6kernelI27subtract_right_partial_tileLj256ELj3ELb0EJPdPiS1_jEEvDpT3_,@function
_Z6kernelI27subtract_right_partial_tileLj256ELj3ELb0EJPdPiS1_jEEvDpT3_: ; @_Z6kernelI27subtract_right_partial_tileLj256ELj3ELb0EJPdPiS1_jEEvDpT3_
; %bb.0:
	s_load_b128 s[8:11], s[0:1], 0x0
	s_mul_i32 s6, ttmp9, 0x300
	s_mov_b32 s7, 0
	v_lshlrev_b32_e32 v9, 3, v0
	s_lshl_b64 s[4:5], s[6:7], 3
	s_load_b96 s[0:2], s[0:1], 0x10
	v_mad_u32_u24 v10, v0, 3, 1
	v_mad_u32_u24 v11, v0, 3, 2
	;; [unrolled: 1-line block ×3, first 2 shown]
	s_wait_kmcnt 0x0
	s_add_nc_u64 s[8:9], s[8:9], s[4:5]
	s_clause 0x2
	global_load_b64 v[1:2], v9, s[8:9]
	global_load_b64 v[3:4], v9, s[8:9] offset:2048
	global_load_b64 v[5:6], v9, s[8:9] offset:4096
	s_cvt_f32_u32 s3, s2
	s_sub_co_i32 s6, 0, s2
	s_delay_alu instid0(SALU_CYCLE_2) | instskip(NEXT) | instid1(TRANS32_DEP_1)
	v_rcp_iflag_f32_e32 v7, s3
	v_readfirstlane_b32 s3, v7
	s_mul_f32 s3, s3, 0x4f7ffffe
	s_wait_alu 0xfffe
	s_delay_alu instid0(SALU_CYCLE_2) | instskip(SKIP_1) | instid1(SALU_CYCLE_2)
	s_cvt_u32_f32 s3, s3
	s_wait_alu 0xfffe
	s_mul_i32 s8, s6, s3
	s_mov_b32 s6, ttmp9
	s_mul_hi_u32 s8, s3, s8
	s_lshl_b64 s[6:7], s[6:7], 2
	s_add_co_i32 s8, s3, s8
	s_add_nc_u64 s[6:7], s[10:11], s[6:7]
	s_load_b32 s3, s[6:7], 0x0
	s_mul_hi_u32 s7, s8, 0x300
	s_delay_alu instid0(SALU_CYCLE_1)
	s_mul_i32 s6, s7, s2
	s_add_co_i32 s9, s7, 1
	s_sub_co_i32 s8, 0x300, s6
	s_mov_b32 s6, s0
	s_sub_co_i32 s10, s8, s2
	s_cmp_ge_u32 s8, s2
	s_cselect_b32 s0, s9, s7
	s_cselect_b32 s7, s10, s8
	s_add_co_i32 s8, s0, 1
	s_cmp_ge_u32 s7, s2
	s_mov_b32 s7, s1
	s_cselect_b32 s0, s8, s0
	s_delay_alu instid0(SALU_CYCLE_1)
	s_add_co_i32 s1, s0, 1
	s_branch .LBB205_2
.LBB205_1:                              ;   in Loop: Header=BB205_2 Depth=1
	s_or_b32 exec_lo, exec_lo, s0
	v_add_f64_e64 v[13:14], v[1:2], -v[3:4]
	v_add_f64_e64 v[15:16], v[3:4], -v[5:6]
	v_cmp_gt_u32_e32 vcc_lo, s3, v10
	v_cmp_gt_u32_e64 s0, s3, v11
	v_add_f64_e32 v[5:6], v[5:6], v[7:8]
	s_add_co_i32 s2, s2, -1
	s_wait_loadcnt 0x0
	s_barrier_signal -1
	s_barrier_wait -1
	global_inv scope:SCOPE_SE
	s_wait_alu 0xfffd
	v_dual_cndmask_b32 v14, v2, v14 :: v_dual_cndmask_b32 v13, v1, v13
	v_cndmask_b32_e64 v16, v4, v16, s0
	v_cndmask_b32_e64 v15, v3, v15, s0
	s_add_co_i32 s0, s1, s3
	s_delay_alu instid0(VALU_DEP_3)
	v_add_f64_e32 v[1:2], v[1:2], v[13:14]
	s_wait_alu 0xfffe
	s_mul_hi_u32 s3, s0, 0xaaaaaaab
	v_add_f64_e32 v[3:4], v[3:4], v[15:16]
	s_wait_alu 0xfffe
	s_lshr_b32 s3, s3, 9
	s_wait_alu 0xfffe
	s_mulk_i32 s3, 0x300
	s_wait_alu 0xfffe
	s_sub_co_i32 s3, s0, s3
	s_cmp_lg_u32 s2, 0
	s_cbranch_scc0 .LBB205_4
.LBB205_2:                              ; =>This Inner Loop Header: Depth=1
	s_wait_loadcnt 0x0
	v_dual_mov_b32 v8, v6 :: v_dual_mov_b32 v7, v5
	s_mov_b32 s0, exec_lo
	ds_store_b64 v9, v[1:2] offset:2048
	s_wait_dscnt 0x0
	s_barrier_signal -1
	s_barrier_wait -1
	global_inv scope:SCOPE_SE
	s_wait_kmcnt 0x0
	s_wait_alu 0xfffe
	v_cmpx_gt_u32_e64 s3, v12
	s_cbranch_execz .LBB205_1
; %bb.3:                                ;   in Loop: Header=BB205_2 Depth=1
	ds_load_b64 v[7:8], v9 offset:2056
	s_wait_dscnt 0x0
	v_add_f64_e64 v[7:8], v[5:6], -v[7:8]
	s_branch .LBB205_1
.LBB205_4:
	v_lshlrev_b32_e32 v0, 3, v0
	s_add_nc_u64 s[0:1], s[6:7], s[4:5]
	s_clause 0x2
	global_store_b64 v0, v[1:2], s[0:1]
	global_store_b64 v0, v[3:4], s[0:1] offset:2048
	global_store_b64 v0, v[5:6], s[0:1] offset:4096
	s_endpgm
	.section	.rodata,"a",@progbits
	.p2align	6, 0x0
	.amdhsa_kernel _Z6kernelI27subtract_right_partial_tileLj256ELj3ELb0EJPdPiS1_jEEvDpT3_
		.amdhsa_group_segment_fixed_size 4096
		.amdhsa_private_segment_fixed_size 0
		.amdhsa_kernarg_size 28
		.amdhsa_user_sgpr_count 2
		.amdhsa_user_sgpr_dispatch_ptr 0
		.amdhsa_user_sgpr_queue_ptr 0
		.amdhsa_user_sgpr_kernarg_segment_ptr 1
		.amdhsa_user_sgpr_dispatch_id 0
		.amdhsa_user_sgpr_private_segment_size 0
		.amdhsa_wavefront_size32 1
		.amdhsa_uses_dynamic_stack 0
		.amdhsa_enable_private_segment 0
		.amdhsa_system_sgpr_workgroup_id_x 1
		.amdhsa_system_sgpr_workgroup_id_y 0
		.amdhsa_system_sgpr_workgroup_id_z 0
		.amdhsa_system_sgpr_workgroup_info 0
		.amdhsa_system_vgpr_workitem_id 0
		.amdhsa_next_free_vgpr 17
		.amdhsa_next_free_sgpr 12
		.amdhsa_reserve_vcc 1
		.amdhsa_float_round_mode_32 0
		.amdhsa_float_round_mode_16_64 0
		.amdhsa_float_denorm_mode_32 3
		.amdhsa_float_denorm_mode_16_64 3
		.amdhsa_fp16_overflow 0
		.amdhsa_workgroup_processor_mode 1
		.amdhsa_memory_ordered 1
		.amdhsa_forward_progress 1
		.amdhsa_inst_pref_size 5
		.amdhsa_round_robin_scheduling 0
		.amdhsa_exception_fp_ieee_invalid_op 0
		.amdhsa_exception_fp_denorm_src 0
		.amdhsa_exception_fp_ieee_div_zero 0
		.amdhsa_exception_fp_ieee_overflow 0
		.amdhsa_exception_fp_ieee_underflow 0
		.amdhsa_exception_fp_ieee_inexact 0
		.amdhsa_exception_int_div_zero 0
	.end_amdhsa_kernel
	.section	.text._Z6kernelI27subtract_right_partial_tileLj256ELj3ELb0EJPdPiS1_jEEvDpT3_,"axG",@progbits,_Z6kernelI27subtract_right_partial_tileLj256ELj3ELb0EJPdPiS1_jEEvDpT3_,comdat
.Lfunc_end205:
	.size	_Z6kernelI27subtract_right_partial_tileLj256ELj3ELb0EJPdPiS1_jEEvDpT3_, .Lfunc_end205-_Z6kernelI27subtract_right_partial_tileLj256ELj3ELb0EJPdPiS1_jEEvDpT3_
                                        ; -- End function
	.set _Z6kernelI27subtract_right_partial_tileLj256ELj3ELb0EJPdPiS1_jEEvDpT3_.num_vgpr, 17
	.set _Z6kernelI27subtract_right_partial_tileLj256ELj3ELb0EJPdPiS1_jEEvDpT3_.num_agpr, 0
	.set _Z6kernelI27subtract_right_partial_tileLj256ELj3ELb0EJPdPiS1_jEEvDpT3_.numbered_sgpr, 12
	.set _Z6kernelI27subtract_right_partial_tileLj256ELj3ELb0EJPdPiS1_jEEvDpT3_.num_named_barrier, 0
	.set _Z6kernelI27subtract_right_partial_tileLj256ELj3ELb0EJPdPiS1_jEEvDpT3_.private_seg_size, 0
	.set _Z6kernelI27subtract_right_partial_tileLj256ELj3ELb0EJPdPiS1_jEEvDpT3_.uses_vcc, 1
	.set _Z6kernelI27subtract_right_partial_tileLj256ELj3ELb0EJPdPiS1_jEEvDpT3_.uses_flat_scratch, 0
	.set _Z6kernelI27subtract_right_partial_tileLj256ELj3ELb0EJPdPiS1_jEEvDpT3_.has_dyn_sized_stack, 0
	.set _Z6kernelI27subtract_right_partial_tileLj256ELj3ELb0EJPdPiS1_jEEvDpT3_.has_recursion, 0
	.set _Z6kernelI27subtract_right_partial_tileLj256ELj3ELb0EJPdPiS1_jEEvDpT3_.has_indirect_call, 0
	.section	.AMDGPU.csdata,"",@progbits
; Kernel info:
; codeLenInByte = 556
; TotalNumSgprs: 14
; NumVgprs: 17
; ScratchSize: 0
; MemoryBound: 0
; FloatMode: 240
; IeeeMode: 1
; LDSByteSize: 4096 bytes/workgroup (compile time only)
; SGPRBlocks: 0
; VGPRBlocks: 2
; NumSGPRsForWavesPerEU: 14
; NumVGPRsForWavesPerEU: 17
; Occupancy: 16
; WaveLimiterHint : 1
; COMPUTE_PGM_RSRC2:SCRATCH_EN: 0
; COMPUTE_PGM_RSRC2:USER_SGPR: 2
; COMPUTE_PGM_RSRC2:TRAP_HANDLER: 0
; COMPUTE_PGM_RSRC2:TGID_X_EN: 1
; COMPUTE_PGM_RSRC2:TGID_Y_EN: 0
; COMPUTE_PGM_RSRC2:TGID_Z_EN: 0
; COMPUTE_PGM_RSRC2:TIDIG_COMP_CNT: 0
	.section	.text._Z6kernelI27subtract_right_partial_tileLj256ELj4ELb0EJPdPiS1_jEEvDpT3_,"axG",@progbits,_Z6kernelI27subtract_right_partial_tileLj256ELj4ELb0EJPdPiS1_jEEvDpT3_,comdat
	.protected	_Z6kernelI27subtract_right_partial_tileLj256ELj4ELb0EJPdPiS1_jEEvDpT3_ ; -- Begin function _Z6kernelI27subtract_right_partial_tileLj256ELj4ELb0EJPdPiS1_jEEvDpT3_
	.globl	_Z6kernelI27subtract_right_partial_tileLj256ELj4ELb0EJPdPiS1_jEEvDpT3_
	.p2align	8
	.type	_Z6kernelI27subtract_right_partial_tileLj256ELj4ELb0EJPdPiS1_jEEvDpT3_,@function
_Z6kernelI27subtract_right_partial_tileLj256ELj4ELb0EJPdPiS1_jEEvDpT3_: ; @_Z6kernelI27subtract_right_partial_tileLj256ELj4ELb0EJPdPiS1_jEEvDpT3_
; %bb.0:
	s_load_b128 s[8:11], s[0:1], 0x0
	s_lshl_b32 s6, ttmp9, 10
	s_mov_b32 s7, 0
	v_lshlrev_b32_e32 v11, 3, v0
	s_lshl_b64 s[4:5], s[6:7], 3
	s_load_b96 s[0:2], s[0:1], 0x10
	s_wait_kmcnt 0x0
	s_add_nc_u64 s[8:9], s[8:9], s[4:5]
	s_clause 0x3
	global_load_b64 v[1:2], v11, s[8:9]
	global_load_b64 v[3:4], v11, s[8:9] offset:2048
	global_load_b64 v[5:6], v11, s[8:9] offset:4096
	;; [unrolled: 1-line block ×3, first 2 shown]
	s_cvt_f32_u32 s3, s2
	s_sub_co_i32 s6, 0, s2
	s_delay_alu instid0(SALU_CYCLE_2) | instskip(NEXT) | instid1(TRANS32_DEP_1)
	v_rcp_iflag_f32_e32 v9, s3
	v_readfirstlane_b32 s3, v9
	v_lshlrev_b32_e32 v9, 2, v0
	s_mul_f32 s3, s3, 0x4f7ffffe
	s_delay_alu instid0(VALU_DEP_1)
	v_or_b32_e32 v12, 1, v9
	v_or_b32_e32 v13, 2, v9
	;; [unrolled: 1-line block ×3, first 2 shown]
	s_wait_alu 0xfffe
	s_cvt_u32_f32 s3, s3
	v_add_nc_u32_e32 v15, 4, v9
	s_wait_alu 0xfffe
	s_delay_alu instid0(SALU_CYCLE_1) | instskip(NEXT) | instid1(SALU_CYCLE_1)
	s_mul_i32 s6, s6, s3
	s_mul_hi_u32 s8, s3, s6
	s_mov_b32 s6, ttmp9
	s_add_co_i32 s3, s3, s8
	s_lshl_b64 s[6:7], s[6:7], 2
	s_wait_alu 0xfffe
	s_lshr_b32 s8, s3, 22
	s_add_nc_u64 s[6:7], s[10:11], s[6:7]
	s_load_b32 s3, s[6:7], 0x0
	s_mul_i32 s7, s8, s2
	s_mov_b32 s6, s0
	s_sub_co_i32 s0, 0x400, s7
	s_add_co_i32 s7, s8, 1
	s_sub_co_i32 s9, s0, s2
	s_cmp_ge_u32 s0, s2
	s_cselect_b32 s7, s7, s8
	s_cselect_b32 s0, s9, s0
	s_add_co_i32 s8, s7, 1
	s_cmp_ge_u32 s0, s2
	s_cselect_b32 s8, s8, s7
	s_mov_b32 s7, s1
	s_add_co_i32 s8, s8, 1
	s_branch .LBB206_2
.LBB206_1:                              ;   in Loop: Header=BB206_2 Depth=1
	s_or_b32 exec_lo, exec_lo, s0
	v_add_f64_e64 v[16:17], v[1:2], -v[3:4]
	v_add_f64_e64 v[18:19], v[3:4], -v[5:6]
	;; [unrolled: 1-line block ×3, first 2 shown]
	v_cmp_gt_u32_e32 vcc_lo, s3, v12
	v_cmp_gt_u32_e64 s0, s3, v13
	v_cmp_gt_u32_e64 s1, s3, v14
	v_add_f64_e32 v[7:8], v[7:8], v[9:10]
	s_add_co_i32 s2, s2, -1
	s_wait_loadcnt 0x0
	s_barrier_signal -1
	s_barrier_wait -1
	global_inv scope:SCOPE_SE
	s_wait_alu 0xfffd
	v_dual_cndmask_b32 v17, v2, v17 :: v_dual_cndmask_b32 v16, v1, v16
	v_cndmask_b32_e64 v19, v4, v19, s0
	v_cndmask_b32_e64 v18, v3, v18, s0
	;; [unrolled: 1-line block ×4, first 2 shown]
	v_add_f64_e32 v[1:2], v[1:2], v[16:17]
	s_add_co_i32 s0, s8, s3
	v_add_f64_e32 v[3:4], v[3:4], v[18:19]
	s_wait_alu 0xfffe
	s_and_b32 s3, s0, 0x3ff
	v_add_f64_e32 v[5:6], v[5:6], v[20:21]
	s_cmp_lg_u32 s2, 0
	s_cbranch_scc0 .LBB206_4
.LBB206_2:                              ; =>This Inner Loop Header: Depth=1
	s_wait_loadcnt 0x0
	v_dual_mov_b32 v10, v8 :: v_dual_mov_b32 v9, v7
	s_mov_b32 s0, exec_lo
	ds_store_b64 v11, v[1:2] offset:2048
	s_wait_dscnt 0x0
	s_barrier_signal -1
	s_barrier_wait -1
	global_inv scope:SCOPE_SE
	s_wait_kmcnt 0x0
	s_wait_alu 0xfffe
	v_cmpx_gt_u32_e64 s3, v15
	s_cbranch_execz .LBB206_1
; %bb.3:                                ;   in Loop: Header=BB206_2 Depth=1
	ds_load_b64 v[9:10], v11 offset:2056
	s_wait_dscnt 0x0
	v_add_f64_e64 v[9:10], v[7:8], -v[9:10]
	s_branch .LBB206_1
.LBB206_4:
	v_lshlrev_b32_e32 v0, 3, v0
	s_add_nc_u64 s[0:1], s[6:7], s[4:5]
	s_clause 0x3
	global_store_b64 v0, v[1:2], s[0:1]
	global_store_b64 v0, v[3:4], s[0:1] offset:2048
	global_store_b64 v0, v[5:6], s[0:1] offset:4096
	global_store_b64 v0, v[7:8], s[0:1] offset:6144
	s_endpgm
	.section	.rodata,"a",@progbits
	.p2align	6, 0x0
	.amdhsa_kernel _Z6kernelI27subtract_right_partial_tileLj256ELj4ELb0EJPdPiS1_jEEvDpT3_
		.amdhsa_group_segment_fixed_size 4096
		.amdhsa_private_segment_fixed_size 0
		.amdhsa_kernarg_size 28
		.amdhsa_user_sgpr_count 2
		.amdhsa_user_sgpr_dispatch_ptr 0
		.amdhsa_user_sgpr_queue_ptr 0
		.amdhsa_user_sgpr_kernarg_segment_ptr 1
		.amdhsa_user_sgpr_dispatch_id 0
		.amdhsa_user_sgpr_private_segment_size 0
		.amdhsa_wavefront_size32 1
		.amdhsa_uses_dynamic_stack 0
		.amdhsa_enable_private_segment 0
		.amdhsa_system_sgpr_workgroup_id_x 1
		.amdhsa_system_sgpr_workgroup_id_y 0
		.amdhsa_system_sgpr_workgroup_id_z 0
		.amdhsa_system_sgpr_workgroup_info 0
		.amdhsa_system_vgpr_workitem_id 0
		.amdhsa_next_free_vgpr 22
		.amdhsa_next_free_sgpr 12
		.amdhsa_reserve_vcc 1
		.amdhsa_float_round_mode_32 0
		.amdhsa_float_round_mode_16_64 0
		.amdhsa_float_denorm_mode_32 3
		.amdhsa_float_denorm_mode_16_64 3
		.amdhsa_fp16_overflow 0
		.amdhsa_workgroup_processor_mode 1
		.amdhsa_memory_ordered 1
		.amdhsa_forward_progress 1
		.amdhsa_inst_pref_size 5
		.amdhsa_round_robin_scheduling 0
		.amdhsa_exception_fp_ieee_invalid_op 0
		.amdhsa_exception_fp_denorm_src 0
		.amdhsa_exception_fp_ieee_div_zero 0
		.amdhsa_exception_fp_ieee_overflow 0
		.amdhsa_exception_fp_ieee_underflow 0
		.amdhsa_exception_fp_ieee_inexact 0
		.amdhsa_exception_int_div_zero 0
	.end_amdhsa_kernel
	.section	.text._Z6kernelI27subtract_right_partial_tileLj256ELj4ELb0EJPdPiS1_jEEvDpT3_,"axG",@progbits,_Z6kernelI27subtract_right_partial_tileLj256ELj4ELb0EJPdPiS1_jEEvDpT3_,comdat
.Lfunc_end206:
	.size	_Z6kernelI27subtract_right_partial_tileLj256ELj4ELb0EJPdPiS1_jEEvDpT3_, .Lfunc_end206-_Z6kernelI27subtract_right_partial_tileLj256ELj4ELb0EJPdPiS1_jEEvDpT3_
                                        ; -- End function
	.set _Z6kernelI27subtract_right_partial_tileLj256ELj4ELb0EJPdPiS1_jEEvDpT3_.num_vgpr, 22
	.set _Z6kernelI27subtract_right_partial_tileLj256ELj4ELb0EJPdPiS1_jEEvDpT3_.num_agpr, 0
	.set _Z6kernelI27subtract_right_partial_tileLj256ELj4ELb0EJPdPiS1_jEEvDpT3_.numbered_sgpr, 12
	.set _Z6kernelI27subtract_right_partial_tileLj256ELj4ELb0EJPdPiS1_jEEvDpT3_.num_named_barrier, 0
	.set _Z6kernelI27subtract_right_partial_tileLj256ELj4ELb0EJPdPiS1_jEEvDpT3_.private_seg_size, 0
	.set _Z6kernelI27subtract_right_partial_tileLj256ELj4ELb0EJPdPiS1_jEEvDpT3_.uses_vcc, 1
	.set _Z6kernelI27subtract_right_partial_tileLj256ELj4ELb0EJPdPiS1_jEEvDpT3_.uses_flat_scratch, 0
	.set _Z6kernelI27subtract_right_partial_tileLj256ELj4ELb0EJPdPiS1_jEEvDpT3_.has_dyn_sized_stack, 0
	.set _Z6kernelI27subtract_right_partial_tileLj256ELj4ELb0EJPdPiS1_jEEvDpT3_.has_recursion, 0
	.set _Z6kernelI27subtract_right_partial_tileLj256ELj4ELb0EJPdPiS1_jEEvDpT3_.has_indirect_call, 0
	.section	.AMDGPU.csdata,"",@progbits
; Kernel info:
; codeLenInByte = 576
; TotalNumSgprs: 14
; NumVgprs: 22
; ScratchSize: 0
; MemoryBound: 0
; FloatMode: 240
; IeeeMode: 1
; LDSByteSize: 4096 bytes/workgroup (compile time only)
; SGPRBlocks: 0
; VGPRBlocks: 2
; NumSGPRsForWavesPerEU: 14
; NumVGPRsForWavesPerEU: 22
; Occupancy: 16
; WaveLimiterHint : 1
; COMPUTE_PGM_RSRC2:SCRATCH_EN: 0
; COMPUTE_PGM_RSRC2:USER_SGPR: 2
; COMPUTE_PGM_RSRC2:TRAP_HANDLER: 0
; COMPUTE_PGM_RSRC2:TGID_X_EN: 1
; COMPUTE_PGM_RSRC2:TGID_Y_EN: 0
; COMPUTE_PGM_RSRC2:TGID_Z_EN: 0
; COMPUTE_PGM_RSRC2:TIDIG_COMP_CNT: 0
	.section	.text._Z6kernelI27subtract_right_partial_tileLj256ELj8ELb0EJPdPiS1_jEEvDpT3_,"axG",@progbits,_Z6kernelI27subtract_right_partial_tileLj256ELj8ELb0EJPdPiS1_jEEvDpT3_,comdat
	.protected	_Z6kernelI27subtract_right_partial_tileLj256ELj8ELb0EJPdPiS1_jEEvDpT3_ ; -- Begin function _Z6kernelI27subtract_right_partial_tileLj256ELj8ELb0EJPdPiS1_jEEvDpT3_
	.globl	_Z6kernelI27subtract_right_partial_tileLj256ELj8ELb0EJPdPiS1_jEEvDpT3_
	.p2align	8
	.type	_Z6kernelI27subtract_right_partial_tileLj256ELj8ELb0EJPdPiS1_jEEvDpT3_,@function
_Z6kernelI27subtract_right_partial_tileLj256ELj8ELb0EJPdPiS1_jEEvDpT3_: ; @_Z6kernelI27subtract_right_partial_tileLj256ELj8ELb0EJPdPiS1_jEEvDpT3_
; %bb.0:
	s_clause 0x1
	s_load_b128 s[12:15], s[0:1], 0x0
	s_load_b96 s[4:6], s[0:1], 0x10
	s_lshl_b32 s2, ttmp9, 11
	s_mov_b32 s3, 0
	v_lshlrev_b32_e32 v19, 3, v0
	s_lshl_b64 s[8:9], s[2:3], 3
	s_mov_b32 s2, ttmp9
	s_delay_alu instid0(VALU_DEP_1)
	v_or_b32_e32 v20, 1, v19
	v_or_b32_e32 v21, 2, v19
	;; [unrolled: 1-line block ×7, first 2 shown]
	v_add_nc_u32_e32 v27, 8, v19
	s_wait_kmcnt 0x0
	s_add_nc_u64 s[0:1], s[12:13], s[8:9]
	s_mov_b32 s10, s4
	s_clause 0x7
	global_load_b64 v[15:16], v19, s[0:1]
	global_load_b64 v[13:14], v19, s[0:1] offset:2048
	global_load_b64 v[11:12], v19, s[0:1] offset:4096
	;; [unrolled: 1-line block ×7, first 2 shown]
	s_cvt_f32_u32 s0, s6
	s_sub_co_i32 s1, 0, s6
	s_mov_b32 s11, s5
	s_delay_alu instid0(SALU_CYCLE_1) | instskip(NEXT) | instid1(TRANS32_DEP_1)
	v_rcp_iflag_f32_e32 v17, s0
	v_readfirstlane_b32 s0, v17
	s_mul_f32 s0, s0, 0x4f7ffffe
	s_wait_alu 0xfffe
	s_delay_alu instid0(SALU_CYCLE_2) | instskip(SKIP_1) | instid1(SALU_CYCLE_2)
	s_cvt_u32_f32 s0, s0
	s_wait_alu 0xfffe
	s_mul_i32 s1, s1, s0
	s_wait_alu 0xfffe
	s_mul_hi_u32 s1, s0, s1
	s_wait_alu 0xfffe
	s_add_co_i32 s7, s0, s1
	s_lshl_b64 s[0:1], s[2:3], 2
	s_lshr_b32 s2, s7, 21
	s_wait_alu 0xfffe
	s_add_nc_u64 s[0:1], s[14:15], s[0:1]
	s_mul_i32 s3, s2, s6
	s_load_b32 s7, s[0:1], 0x0
	s_sub_co_i32 s0, 0x800, s3
	s_add_co_i32 s1, s2, 1
	s_wait_alu 0xfffe
	s_sub_co_i32 s3, s0, s6
	s_cmp_ge_u32 s0, s6
	s_cselect_b32 s1, s1, s2
	s_cselect_b32 s0, s3, s0
	s_wait_alu 0xfffe
	s_add_co_i32 s2, s1, 1
	s_cmp_ge_u32 s0, s6
	s_cselect_b32 s12, s2, s1
	s_delay_alu instid0(SALU_CYCLE_1)
	s_add_co_i32 s12, s12, 1
	s_branch .LBB207_2
.LBB207_1:                              ;   in Loop: Header=BB207_2 Depth=1
	s_or_b32 exec_lo, exec_lo, s0
	v_add_f64_e64 v[28:29], v[15:16], -v[13:14]
	v_add_f64_e64 v[30:31], v[13:14], -v[11:12]
	;; [unrolled: 1-line block ×7, first 2 shown]
	v_cmp_gt_u32_e32 vcc_lo, s7, v20
	v_cmp_gt_u32_e64 s0, s7, v21
	v_cmp_gt_u32_e64 s1, s7, v22
	;; [unrolled: 1-line block ×6, first 2 shown]
	v_add_f64_e32 v[1:2], v[1:2], v[17:18]
	s_add_co_i32 s6, s6, -1
	s_wait_loadcnt 0x0
	s_barrier_signal -1
	s_barrier_wait -1
	global_inv scope:SCOPE_SE
	s_wait_alu 0xfffd
	v_dual_cndmask_b32 v29, v16, v29 :: v_dual_cndmask_b32 v28, v15, v28
	v_cndmask_b32_e64 v31, v14, v31, s0
	v_cndmask_b32_e64 v30, v13, v30, s0
	;; [unrolled: 1-line block ×12, first 2 shown]
	v_add_f64_e32 v[15:16], v[15:16], v[28:29]
	v_add_f64_e32 v[13:14], v[13:14], v[30:31]
	;; [unrolled: 1-line block ×7, first 2 shown]
	s_add_co_i32 s0, s12, s7
	s_wait_alu 0xfffe
	s_and_b32 s7, s0, 0x7ff
	s_cmp_lg_u32 s6, 0
	s_cbranch_scc0 .LBB207_4
.LBB207_2:                              ; =>This Inner Loop Header: Depth=1
	s_wait_loadcnt 0x0
	v_dual_mov_b32 v18, v2 :: v_dual_mov_b32 v17, v1
	s_mov_b32 s0, exec_lo
	ds_store_b64 v19, v[15:16] offset:2048
	s_wait_dscnt 0x0
	s_barrier_signal -1
	s_barrier_wait -1
	global_inv scope:SCOPE_SE
	s_wait_kmcnt 0x0
	s_wait_alu 0xfffe
	v_cmpx_gt_u32_e64 s7, v27
	s_cbranch_execz .LBB207_1
; %bb.3:                                ;   in Loop: Header=BB207_2 Depth=1
	ds_load_b64 v[17:18], v19 offset:2056
	s_wait_dscnt 0x0
	v_add_f64_e64 v[17:18], v[1:2], -v[17:18]
	s_branch .LBB207_1
.LBB207_4:
	v_lshlrev_b32_e32 v0, 3, v0
	s_add_nc_u64 s[0:1], s[10:11], s[8:9]
	s_clause 0x7
	global_store_b64 v0, v[15:16], s[0:1]
	global_store_b64 v0, v[13:14], s[0:1] offset:2048
	global_store_b64 v0, v[11:12], s[0:1] offset:4096
	;; [unrolled: 1-line block ×7, first 2 shown]
	s_endpgm
	.section	.rodata,"a",@progbits
	.p2align	6, 0x0
	.amdhsa_kernel _Z6kernelI27subtract_right_partial_tileLj256ELj8ELb0EJPdPiS1_jEEvDpT3_
		.amdhsa_group_segment_fixed_size 4096
		.amdhsa_private_segment_fixed_size 0
		.amdhsa_kernarg_size 28
		.amdhsa_user_sgpr_count 2
		.amdhsa_user_sgpr_dispatch_ptr 0
		.amdhsa_user_sgpr_queue_ptr 0
		.amdhsa_user_sgpr_kernarg_segment_ptr 1
		.amdhsa_user_sgpr_dispatch_id 0
		.amdhsa_user_sgpr_private_segment_size 0
		.amdhsa_wavefront_size32 1
		.amdhsa_uses_dynamic_stack 0
		.amdhsa_enable_private_segment 0
		.amdhsa_system_sgpr_workgroup_id_x 1
		.amdhsa_system_sgpr_workgroup_id_y 0
		.amdhsa_system_sgpr_workgroup_id_z 0
		.amdhsa_system_sgpr_workgroup_info 0
		.amdhsa_system_vgpr_workitem_id 0
		.amdhsa_next_free_vgpr 42
		.amdhsa_next_free_sgpr 16
		.amdhsa_reserve_vcc 1
		.amdhsa_float_round_mode_32 0
		.amdhsa_float_round_mode_16_64 0
		.amdhsa_float_denorm_mode_32 3
		.amdhsa_float_denorm_mode_16_64 3
		.amdhsa_fp16_overflow 0
		.amdhsa_workgroup_processor_mode 1
		.amdhsa_memory_ordered 1
		.amdhsa_forward_progress 1
		.amdhsa_inst_pref_size 7
		.amdhsa_round_robin_scheduling 0
		.amdhsa_exception_fp_ieee_invalid_op 0
		.amdhsa_exception_fp_denorm_src 0
		.amdhsa_exception_fp_ieee_div_zero 0
		.amdhsa_exception_fp_ieee_overflow 0
		.amdhsa_exception_fp_ieee_underflow 0
		.amdhsa_exception_fp_ieee_inexact 0
		.amdhsa_exception_int_div_zero 0
	.end_amdhsa_kernel
	.section	.text._Z6kernelI27subtract_right_partial_tileLj256ELj8ELb0EJPdPiS1_jEEvDpT3_,"axG",@progbits,_Z6kernelI27subtract_right_partial_tileLj256ELj8ELb0EJPdPiS1_jEEvDpT3_,comdat
.Lfunc_end207:
	.size	_Z6kernelI27subtract_right_partial_tileLj256ELj8ELb0EJPdPiS1_jEEvDpT3_, .Lfunc_end207-_Z6kernelI27subtract_right_partial_tileLj256ELj8ELb0EJPdPiS1_jEEvDpT3_
                                        ; -- End function
	.set _Z6kernelI27subtract_right_partial_tileLj256ELj8ELb0EJPdPiS1_jEEvDpT3_.num_vgpr, 42
	.set _Z6kernelI27subtract_right_partial_tileLj256ELj8ELb0EJPdPiS1_jEEvDpT3_.num_agpr, 0
	.set _Z6kernelI27subtract_right_partial_tileLj256ELj8ELb0EJPdPiS1_jEEvDpT3_.numbered_sgpr, 16
	.set _Z6kernelI27subtract_right_partial_tileLj256ELj8ELb0EJPdPiS1_jEEvDpT3_.num_named_barrier, 0
	.set _Z6kernelI27subtract_right_partial_tileLj256ELj8ELb0EJPdPiS1_jEEvDpT3_.private_seg_size, 0
	.set _Z6kernelI27subtract_right_partial_tileLj256ELj8ELb0EJPdPiS1_jEEvDpT3_.uses_vcc, 1
	.set _Z6kernelI27subtract_right_partial_tileLj256ELj8ELb0EJPdPiS1_jEEvDpT3_.uses_flat_scratch, 0
	.set _Z6kernelI27subtract_right_partial_tileLj256ELj8ELb0EJPdPiS1_jEEvDpT3_.has_dyn_sized_stack, 0
	.set _Z6kernelI27subtract_right_partial_tileLj256ELj8ELb0EJPdPiS1_jEEvDpT3_.has_recursion, 0
	.set _Z6kernelI27subtract_right_partial_tileLj256ELj8ELb0EJPdPiS1_jEEvDpT3_.has_indirect_call, 0
	.section	.AMDGPU.csdata,"",@progbits
; Kernel info:
; codeLenInByte = 852
; TotalNumSgprs: 18
; NumVgprs: 42
; ScratchSize: 0
; MemoryBound: 0
; FloatMode: 240
; IeeeMode: 1
; LDSByteSize: 4096 bytes/workgroup (compile time only)
; SGPRBlocks: 0
; VGPRBlocks: 5
; NumSGPRsForWavesPerEU: 18
; NumVGPRsForWavesPerEU: 42
; Occupancy: 16
; WaveLimiterHint : 1
; COMPUTE_PGM_RSRC2:SCRATCH_EN: 0
; COMPUTE_PGM_RSRC2:USER_SGPR: 2
; COMPUTE_PGM_RSRC2:TRAP_HANDLER: 0
; COMPUTE_PGM_RSRC2:TGID_X_EN: 1
; COMPUTE_PGM_RSRC2:TGID_Y_EN: 0
; COMPUTE_PGM_RSRC2:TGID_Z_EN: 0
; COMPUTE_PGM_RSRC2:TIDIG_COMP_CNT: 0
	.section	.text._Z6kernelI27subtract_right_partial_tileLj256ELj16ELb0EJPdPiS1_jEEvDpT3_,"axG",@progbits,_Z6kernelI27subtract_right_partial_tileLj256ELj16ELb0EJPdPiS1_jEEvDpT3_,comdat
	.protected	_Z6kernelI27subtract_right_partial_tileLj256ELj16ELb0EJPdPiS1_jEEvDpT3_ ; -- Begin function _Z6kernelI27subtract_right_partial_tileLj256ELj16ELb0EJPdPiS1_jEEvDpT3_
	.globl	_Z6kernelI27subtract_right_partial_tileLj256ELj16ELb0EJPdPiS1_jEEvDpT3_
	.p2align	8
	.type	_Z6kernelI27subtract_right_partial_tileLj256ELj16ELb0EJPdPiS1_jEEvDpT3_,@function
_Z6kernelI27subtract_right_partial_tileLj256ELj16ELb0EJPdPiS1_jEEvDpT3_: ; @_Z6kernelI27subtract_right_partial_tileLj256ELj16ELb0EJPdPiS1_jEEvDpT3_
; %bb.0:
	s_clause 0x1
	s_load_b128 s[4:7], s[0:1], 0x0
	s_load_b96 s[8:10], s[0:1], 0x10
	s_lshl_b32 s2, ttmp9, 12
	s_mov_b32 s3, 0
	v_lshlrev_b32_e32 v35, 3, v0
	s_lshl_b64 s[12:13], s[2:3], 3
	s_mov_b32 s2, ttmp9
	s_wait_kmcnt 0x0
	s_add_nc_u64 s[0:1], s[4:5], s[12:13]
	s_clause 0xf
	global_load_b64 v[31:32], v35, s[0:1]
	global_load_b64 v[29:30], v35, s[0:1] offset:2048
	global_load_b64 v[27:28], v35, s[0:1] offset:4096
	;; [unrolled: 1-line block ×15, first 2 shown]
	s_cvt_f32_u32 s0, s10
	s_sub_co_i32 s1, 0, s10
	s_delay_alu instid0(SALU_CYCLE_2) | instskip(NEXT) | instid1(TRANS32_DEP_1)
	v_rcp_iflag_f32_e32 v33, s0
	v_readfirstlane_b32 s0, v33
	v_lshlrev_b32_e32 v33, 4, v0
	s_mul_f32 s0, s0, 0x4f7ffffe
	s_delay_alu instid0(VALU_DEP_1)
	v_or_b32_e32 v36, 1, v33
	v_or_b32_e32 v37, 2, v33
	;; [unrolled: 1-line block ×3, first 2 shown]
	s_wait_alu 0xfffe
	s_cvt_u32_f32 s0, s0
	v_or_b32_e32 v39, 4, v33
	v_or_b32_e32 v40, 5, v33
	;; [unrolled: 1-line block ×3, first 2 shown]
	s_wait_alu 0xfffe
	s_mul_i32 s1, s1, s0
	v_or_b32_e32 v42, 7, v33
	s_wait_alu 0xfffe
	s_mul_hi_u32 s1, s0, s1
	v_or_b32_e32 v43, 8, v33
	s_wait_alu 0xfffe
	s_add_co_i32 s4, s0, s1
	s_lshl_b64 s[0:1], s[2:3], 2
	s_lshr_b32 s2, s4, 20
	s_wait_alu 0xfffe
	s_add_nc_u64 s[0:1], s[6:7], s[0:1]
	s_mul_i32 s3, s2, s10
	s_load_b32 s11, s[0:1], 0x0
	s_sub_co_i32 s0, 0x1000, s3
	s_add_co_i32 s1, s2, 1
	s_wait_alu 0xfffe
	s_sub_co_i32 s3, s0, s10
	s_cmp_ge_u32 s0, s10
	v_or_b32_e32 v44, 9, v33
	s_cselect_b32 s1, s1, s2
	s_cselect_b32 s0, s3, s0
	s_wait_alu 0xfffe
	s_add_co_i32 s2, s1, 1
	s_cmp_ge_u32 s0, s10
	v_or_b32_e32 v45, 10, v33
	v_or_b32_e32 v46, 11, v33
	;; [unrolled: 1-line block ×6, first 2 shown]
	v_add_nc_u32_e32 v51, 16, v33
	s_cselect_b32 s14, s2, s1
	s_delay_alu instid0(SALU_CYCLE_1)
	s_add_co_i32 s14, s14, 1
	s_branch .LBB208_2
.LBB208_1:                              ;   in Loop: Header=BB208_2 Depth=1
	s_or_b32 exec_lo, exec_lo, s0
	v_add_f64_e64 v[52:53], v[31:32], -v[29:30]
	v_add_f64_e64 v[54:55], v[29:30], -v[27:28]
	;; [unrolled: 1-line block ×15, first 2 shown]
	v_cmp_gt_u32_e32 vcc_lo, s11, v36
	v_cmp_gt_u32_e64 s0, s11, v37
	v_cmp_gt_u32_e64 s1, s11, v38
	;; [unrolled: 1-line block ×8, first 2 shown]
	v_add_f64_e32 v[1:2], v[1:2], v[33:34]
	s_add_co_i32 s10, s10, -1
	s_wait_loadcnt 0x0
	s_barrier_signal -1
	s_barrier_wait -1
	global_inv scope:SCOPE_SE
	s_wait_alu 0xfffd
	v_dual_cndmask_b32 v53, v32, v53 :: v_dual_cndmask_b32 v52, v31, v52
	v_cmp_gt_u32_e32 vcc_lo, s11, v45
	v_cndmask_b32_e64 v55, v30, v55, s0
	v_cndmask_b32_e64 v54, v29, v54, s0
	v_cmp_gt_u32_e64 s0, s11, v46
	v_cndmask_b32_e64 v57, v28, v57, s1
	s_wait_alu 0xfffd
	v_dual_cndmask_b32 v71, v14, v71 :: v_dual_cndmask_b32 v70, v13, v70
	v_cmp_gt_u32_e32 vcc_lo, s11, v47
	v_cndmask_b32_e64 v56, v27, v56, s1
	s_wait_alu 0xf1ff
	v_cndmask_b32_e64 v73, v12, v73, s0
	v_cndmask_b32_e64 v72, v11, v72, s0
	v_cmp_gt_u32_e64 s0, s11, v48
	s_wait_alu 0xfffd
	v_dual_cndmask_b32 v75, v10, v75 :: v_dual_cndmask_b32 v74, v9, v74
	v_cmp_gt_u32_e32 vcc_lo, s11, v49
	v_cmp_gt_u32_e64 s1, s11, v50
	v_cndmask_b32_e64 v59, v26, v59, s2
	v_cndmask_b32_e64 v58, v25, v58, s2
	;; [unrolled: 1-line block ×12, first 2 shown]
	s_wait_alu 0xf1ff
	v_cndmask_b32_e64 v77, v8, v77, s0
	v_cndmask_b32_e64 v76, v7, v76, s0
	s_wait_alu 0xfffd
	v_dual_cndmask_b32 v79, v6, v79 :: v_dual_cndmask_b32 v78, v5, v78
	v_cndmask_b32_e64 v81, v4, v81, s1
	v_cndmask_b32_e64 v80, v3, v80, s1
	v_add_f64_e32 v[31:32], v[31:32], v[52:53]
	v_add_f64_e32 v[29:30], v[29:30], v[54:55]
	;; [unrolled: 1-line block ×15, first 2 shown]
	s_add_co_i32 s0, s14, s11
	s_wait_alu 0xfffe
	s_and_b32 s11, s0, 0xfff
	s_cmp_lg_u32 s10, 0
	s_cbranch_scc0 .LBB208_4
.LBB208_2:                              ; =>This Inner Loop Header: Depth=1
	s_wait_loadcnt 0x0
	v_dual_mov_b32 v34, v2 :: v_dual_mov_b32 v33, v1
	s_mov_b32 s0, exec_lo
	ds_store_b64 v35, v[31:32] offset:2048
	s_wait_dscnt 0x0
	s_barrier_signal -1
	s_barrier_wait -1
	global_inv scope:SCOPE_SE
	s_wait_kmcnt 0x0
	s_wait_alu 0xfffe
	v_cmpx_gt_u32_e64 s11, v51
	s_cbranch_execz .LBB208_1
; %bb.3:                                ;   in Loop: Header=BB208_2 Depth=1
	ds_load_b64 v[33:34], v35 offset:2056
	s_wait_dscnt 0x0
	v_add_f64_e64 v[33:34], v[1:2], -v[33:34]
	s_branch .LBB208_1
.LBB208_4:
	v_lshlrev_b32_e32 v0, 3, v0
	s_add_nc_u64 s[0:1], s[8:9], s[12:13]
	s_clause 0xf
	global_store_b64 v0, v[31:32], s[0:1]
	global_store_b64 v0, v[29:30], s[0:1] offset:2048
	global_store_b64 v0, v[27:28], s[0:1] offset:4096
	;; [unrolled: 1-line block ×15, first 2 shown]
	s_endpgm
	.section	.rodata,"a",@progbits
	.p2align	6, 0x0
	.amdhsa_kernel _Z6kernelI27subtract_right_partial_tileLj256ELj16ELb0EJPdPiS1_jEEvDpT3_
		.amdhsa_group_segment_fixed_size 4096
		.amdhsa_private_segment_fixed_size 0
		.amdhsa_kernarg_size 28
		.amdhsa_user_sgpr_count 2
		.amdhsa_user_sgpr_dispatch_ptr 0
		.amdhsa_user_sgpr_queue_ptr 0
		.amdhsa_user_sgpr_kernarg_segment_ptr 1
		.amdhsa_user_sgpr_dispatch_id 0
		.amdhsa_user_sgpr_private_segment_size 0
		.amdhsa_wavefront_size32 1
		.amdhsa_uses_dynamic_stack 0
		.amdhsa_enable_private_segment 0
		.amdhsa_system_sgpr_workgroup_id_x 1
		.amdhsa_system_sgpr_workgroup_id_y 0
		.amdhsa_system_sgpr_workgroup_id_z 0
		.amdhsa_system_sgpr_workgroup_info 0
		.amdhsa_system_vgpr_workitem_id 0
		.amdhsa_next_free_vgpr 82
		.amdhsa_next_free_sgpr 15
		.amdhsa_reserve_vcc 1
		.amdhsa_float_round_mode_32 0
		.amdhsa_float_round_mode_16_64 0
		.amdhsa_float_denorm_mode_32 3
		.amdhsa_float_denorm_mode_16_64 3
		.amdhsa_fp16_overflow 0
		.amdhsa_workgroup_processor_mode 1
		.amdhsa_memory_ordered 1
		.amdhsa_forward_progress 1
		.amdhsa_inst_pref_size 11
		.amdhsa_round_robin_scheduling 0
		.amdhsa_exception_fp_ieee_invalid_op 0
		.amdhsa_exception_fp_denorm_src 0
		.amdhsa_exception_fp_ieee_div_zero 0
		.amdhsa_exception_fp_ieee_overflow 0
		.amdhsa_exception_fp_ieee_underflow 0
		.amdhsa_exception_fp_ieee_inexact 0
		.amdhsa_exception_int_div_zero 0
	.end_amdhsa_kernel
	.section	.text._Z6kernelI27subtract_right_partial_tileLj256ELj16ELb0EJPdPiS1_jEEvDpT3_,"axG",@progbits,_Z6kernelI27subtract_right_partial_tileLj256ELj16ELb0EJPdPiS1_jEEvDpT3_,comdat
.Lfunc_end208:
	.size	_Z6kernelI27subtract_right_partial_tileLj256ELj16ELb0EJPdPiS1_jEEvDpT3_, .Lfunc_end208-_Z6kernelI27subtract_right_partial_tileLj256ELj16ELb0EJPdPiS1_jEEvDpT3_
                                        ; -- End function
	.set _Z6kernelI27subtract_right_partial_tileLj256ELj16ELb0EJPdPiS1_jEEvDpT3_.num_vgpr, 82
	.set _Z6kernelI27subtract_right_partial_tileLj256ELj16ELb0EJPdPiS1_jEEvDpT3_.num_agpr, 0
	.set _Z6kernelI27subtract_right_partial_tileLj256ELj16ELb0EJPdPiS1_jEEvDpT3_.numbered_sgpr, 15
	.set _Z6kernelI27subtract_right_partial_tileLj256ELj16ELb0EJPdPiS1_jEEvDpT3_.num_named_barrier, 0
	.set _Z6kernelI27subtract_right_partial_tileLj256ELj16ELb0EJPdPiS1_jEEvDpT3_.private_seg_size, 0
	.set _Z6kernelI27subtract_right_partial_tileLj256ELj16ELb0EJPdPiS1_jEEvDpT3_.uses_vcc, 1
	.set _Z6kernelI27subtract_right_partial_tileLj256ELj16ELb0EJPdPiS1_jEEvDpT3_.uses_flat_scratch, 0
	.set _Z6kernelI27subtract_right_partial_tileLj256ELj16ELb0EJPdPiS1_jEEvDpT3_.has_dyn_sized_stack, 0
	.set _Z6kernelI27subtract_right_partial_tileLj256ELj16ELb0EJPdPiS1_jEEvDpT3_.has_recursion, 0
	.set _Z6kernelI27subtract_right_partial_tileLj256ELj16ELb0EJPdPiS1_jEEvDpT3_.has_indirect_call, 0
	.section	.AMDGPU.csdata,"",@progbits
; Kernel info:
; codeLenInByte = 1340
; TotalNumSgprs: 17
; NumVgprs: 82
; ScratchSize: 0
; MemoryBound: 0
; FloatMode: 240
; IeeeMode: 1
; LDSByteSize: 4096 bytes/workgroup (compile time only)
; SGPRBlocks: 0
; VGPRBlocks: 10
; NumSGPRsForWavesPerEU: 17
; NumVGPRsForWavesPerEU: 82
; Occupancy: 16
; WaveLimiterHint : 1
; COMPUTE_PGM_RSRC2:SCRATCH_EN: 0
; COMPUTE_PGM_RSRC2:USER_SGPR: 2
; COMPUTE_PGM_RSRC2:TRAP_HANDLER: 0
; COMPUTE_PGM_RSRC2:TGID_X_EN: 1
; COMPUTE_PGM_RSRC2:TGID_Y_EN: 0
; COMPUTE_PGM_RSRC2:TGID_Z_EN: 0
; COMPUTE_PGM_RSRC2:TIDIG_COMP_CNT: 0
	.section	.text._Z6kernelI27subtract_right_partial_tileLj256ELj32ELb0EJPdPiS1_jEEvDpT3_,"axG",@progbits,_Z6kernelI27subtract_right_partial_tileLj256ELj32ELb0EJPdPiS1_jEEvDpT3_,comdat
	.protected	_Z6kernelI27subtract_right_partial_tileLj256ELj32ELb0EJPdPiS1_jEEvDpT3_ ; -- Begin function _Z6kernelI27subtract_right_partial_tileLj256ELj32ELb0EJPdPiS1_jEEvDpT3_
	.globl	_Z6kernelI27subtract_right_partial_tileLj256ELj32ELb0EJPdPiS1_jEEvDpT3_
	.p2align	8
	.type	_Z6kernelI27subtract_right_partial_tileLj256ELj32ELb0EJPdPiS1_jEEvDpT3_,@function
_Z6kernelI27subtract_right_partial_tileLj256ELj32ELb0EJPdPiS1_jEEvDpT3_: ; @_Z6kernelI27subtract_right_partial_tileLj256ELj32ELb0EJPdPiS1_jEEvDpT3_
; %bb.0:
	s_clause 0x1
	s_load_b128 s[4:7], s[0:1], 0x0
	s_load_b96 s[8:10], s[0:1], 0x10
	s_lshl_b32 s2, ttmp9, 13
	s_mov_b32 s3, 0
	v_lshlrev_b32_e32 v67, 3, v0
	s_lshl_b64 s[12:13], s[2:3], 3
	s_mov_b32 s2, ttmp9
	s_wait_kmcnt 0x0
	s_add_nc_u64 s[4:5], s[4:5], s[12:13]
	s_cvt_f32_u32 s0, s10
	s_clause 0x1f
	global_load_b64 v[7:8], v67, s[4:5]
	global_load_b64 v[5:6], v67, s[4:5] offset:2048
	global_load_b64 v[3:4], v67, s[4:5] offset:4096
	global_load_b64 v[1:2], v67, s[4:5] offset:6144
	global_load_b64 v[15:16], v67, s[4:5] offset:8192
	global_load_b64 v[13:14], v67, s[4:5] offset:10240
	global_load_b64 v[11:12], v67, s[4:5] offset:12288
	global_load_b64 v[9:10], v67, s[4:5] offset:14336
	global_load_b64 v[23:24], v67, s[4:5] offset:16384
	global_load_b64 v[21:22], v67, s[4:5] offset:18432
	global_load_b64 v[19:20], v67, s[4:5] offset:20480
	global_load_b64 v[17:18], v67, s[4:5] offset:22528
	global_load_b64 v[31:32], v67, s[4:5] offset:24576
	global_load_b64 v[29:30], v67, s[4:5] offset:26624
	global_load_b64 v[27:28], v67, s[4:5] offset:28672
	global_load_b64 v[25:26], v67, s[4:5] offset:30720
	global_load_b64 v[39:40], v67, s[4:5] offset:32768
	global_load_b64 v[37:38], v67, s[4:5] offset:34816
	global_load_b64 v[35:36], v67, s[4:5] offset:36864
	global_load_b64 v[33:34], v67, s[4:5] offset:38912
	global_load_b64 v[47:48], v67, s[4:5] offset:40960
	global_load_b64 v[45:46], v67, s[4:5] offset:43008
	global_load_b64 v[43:44], v67, s[4:5] offset:45056
	global_load_b64 v[41:42], v67, s[4:5] offset:47104
	global_load_b64 v[55:56], v67, s[4:5] offset:49152
	global_load_b64 v[53:54], v67, s[4:5] offset:51200
	global_load_b64 v[51:52], v67, s[4:5] offset:53248
	global_load_b64 v[49:50], v67, s[4:5] offset:55296
	global_load_b64 v[63:64], v67, s[4:5] offset:57344
	global_load_b64 v[61:62], v67, s[4:5] offset:59392
	global_load_b64 v[59:60], v67, s[4:5] offset:61440
	global_load_b64 v[57:58], v67, s[4:5] offset:63488
	v_rcp_iflag_f32_e32 v65, s0
	s_delay_alu instid0(TRANS32_DEP_1)
	v_readfirstlane_b32 s0, v65
	v_lshlrev_b32_e32 v65, 5, v0
	s_mul_f32 s4, s0, 0x4f7ffffe
	s_lshl_b64 s[0:1], s[2:3], 2
	s_sub_co_i32 s3, 0, s10
	s_wait_alu 0xfffe
	s_add_nc_u64 s[0:1], s[6:7], s[0:1]
	s_cvt_u32_f32 s2, s4
	s_load_b32 s11, s[0:1], 0x0
	v_or_b32_e32 v68, 1, v65
	v_or_b32_e32 v69, 2, v65
	s_mul_i32 s3, s3, s2
	v_or_b32_e32 v70, 3, v65
	s_mul_hi_u32 s3, s2, s3
	v_or_b32_e32 v71, 4, v65
	s_add_co_i32 s2, s2, s3
	v_or_b32_e32 v72, 5, v65
	s_lshr_b32 s2, s2, 19
	v_or_b32_e32 v73, 6, v65
	s_mul_i32 s3, s2, s10
	s_add_co_i32 s4, s2, 1
	s_sub_co_i32 s3, 0x2000, s3
	v_or_b32_e32 v74, 7, v65
	s_sub_co_i32 s5, s3, s10
	s_cmp_ge_u32 s3, s10
	v_or_b32_e32 v75, 8, v65
	s_cselect_b32 s2, s4, s2
	s_cselect_b32 s3, s5, s3
	s_add_co_i32 s4, s2, 1
	s_cmp_ge_u32 s3, s10
	v_or_b32_e32 v76, 9, v65
	v_or_b32_e32 v77, 10, v65
	;; [unrolled: 1-line block ×23, first 2 shown]
	v_add_nc_u32_e32 v99, 32, v65
	s_cselect_b32 s14, s4, s2
	s_delay_alu instid0(SALU_CYCLE_1)
	s_add_co_i32 s14, s14, 1
	s_branch .LBB209_2
.LBB209_1:                              ;   in Loop: Header=BB209_2 Depth=1
	s_or_b32 exec_lo, exec_lo, s0
	v_add_f64_e64 v[100:101], v[7:8], -v[5:6]
	v_add_f64_e64 v[102:103], v[5:6], -v[3:4]
	;; [unrolled: 1-line block ×13, first 2 shown]
	v_cmp_gt_u32_e32 vcc_lo, s11, v68
	v_add_f64_e64 v[104:105], v[3:4], -v[1:2]
	v_add_f64_e64 v[144:145], v[43:44], -v[41:42]
	;; [unrolled: 1-line block ×3, first 2 shown]
	v_cmp_gt_u32_e64 s0, s11, v69
	v_add_f64_e64 v[122:123], v[17:18], -v[31:32]
	v_add_f64_e64 v[148:149], v[55:56], -v[53:54]
	;; [unrolled: 1-line block ×15, first 2 shown]
	v_cmp_gt_u32_e64 s1, s11, v70
	v_cmp_gt_u32_e64 s2, s11, v71
	;; [unrolled: 1-line block ×5, first 2 shown]
	s_wait_alu 0xfffd
	v_dual_cndmask_b32 v101, v8, v101 :: v_dual_cndmask_b32 v100, v7, v100
	v_cmp_gt_u32_e32 vcc_lo, s11, v77
	s_wait_alu 0xf1ff
	v_cndmask_b32_e64 v103, v6, v103, s0
	v_cndmask_b32_e64 v102, v5, v102, s0
	v_cmp_gt_u32_e64 s0, s11, v78
	v_cmp_gt_u32_e64 s6, s11, v75
	s_wait_alu 0xfffd
	v_dual_cndmask_b32 v119, v22, v119 :: v_dual_cndmask_b32 v118, v21, v118
	v_cmp_gt_u32_e32 vcc_lo, s11, v80
	s_wait_alu 0xf1ff
	v_cndmask_b32_e64 v121, v20, v121, s0
	v_cndmask_b32_e64 v120, v19, v120, s0
	v_cmp_gt_u32_e64 s0, s11, v81
	v_cmp_gt_u32_e64 s7, s11, v76
	s_wait_alu 0xfffd
	v_dual_cndmask_b32 v125, v32, v125 :: v_dual_cndmask_b32 v124, v31, v124
	v_cmp_gt_u32_e32 vcc_lo, s11, v82
	s_wait_alu 0xf1ff
	v_cndmask_b32_e64 v127, v30, v127, s0
	v_cndmask_b32_e64 v126, v29, v126, s0
	v_cmp_gt_u32_e64 s0, s11, v84
	v_cndmask_b32_e64 v105, v4, v105, s1
	s_wait_alu 0xfffd
	v_dual_cndmask_b32 v129, v28, v129 :: v_dual_cndmask_b32 v128, v27, v128
	v_cmp_gt_u32_e32 vcc_lo, s11, v85
	s_wait_alu 0xf1ff
	v_cndmask_b32_e64 v133, v40, v133, s0
	v_cndmask_b32_e64 v132, v39, v132, s0
	v_cmp_gt_u32_e64 s0, s11, v86
	v_cndmask_b32_e64 v104, v3, v104, s1
	s_wait_alu 0xfffd
	v_dual_cndmask_b32 v135, v38, v135 :: v_dual_cndmask_b32 v134, v37, v134
	v_cmp_gt_u32_e32 vcc_lo, s11, v87
	s_wait_alu 0xf1ff
	v_cndmask_b32_e64 v137, v36, v137, s0
	v_cndmask_b32_e64 v136, v35, v136, s0
	v_cmp_gt_u32_e64 s0, s11, v88
	v_cmp_gt_u32_e64 s1, s11, v79
	s_wait_alu 0xfffd
	v_dual_cndmask_b32 v139, v34, v139 :: v_dual_cndmask_b32 v138, v33, v138
	v_cmp_gt_u32_e32 vcc_lo, s11, v89
	s_wait_alu 0xf1ff
	v_cndmask_b32_e64 v141, v48, v141, s0
	v_cndmask_b32_e64 v140, v47, v140, s0
	v_cmp_gt_u32_e64 s0, s11, v90
	v_cndmask_b32_e64 v123, v18, v123, s1
	s_wait_alu 0xfffd
	v_dual_cndmask_b32 v143, v46, v143 :: v_dual_cndmask_b32 v142, v45, v142
	v_cmp_gt_u32_e32 vcc_lo, s11, v91
	s_wait_alu 0xf1ff
	v_cndmask_b32_e64 v145, v44, v145, s0
	v_cndmask_b32_e64 v144, v43, v144, s0
	v_cmp_gt_u32_e64 s0, s11, v92
	v_cndmask_b32_e64 v122, v17, v122, s1
	s_wait_alu 0xfffd
	v_dual_cndmask_b32 v147, v42, v147 :: v_dual_cndmask_b32 v146, v41, v146
	v_cmp_gt_u32_e32 vcc_lo, s11, v93
	v_cmp_gt_u32_e64 s1, s11, v83
	s_wait_alu 0xf1ff
	v_cndmask_b32_e64 v149, v56, v149, s0
	v_cndmask_b32_e64 v148, v55, v148, s0
	v_cmp_gt_u32_e64 s0, s11, v94
	s_wait_alu 0xfffd
	v_dual_cndmask_b32 v151, v54, v151 :: v_dual_cndmask_b32 v150, v53, v150
	v_cmp_gt_u32_e32 vcc_lo, s11, v95
	v_cndmask_b32_e64 v131, v26, v131, s1
	v_cndmask_b32_e64 v130, v25, v130, s1
	s_wait_alu 0xf1ff
	v_cndmask_b32_e64 v153, v52, v153, s0
	v_cndmask_b32_e64 v152, v51, v152, s0
	s_wait_alu 0xfffd
	v_dual_cndmask_b32 v155, v50, v155 :: v_dual_cndmask_b32 v154, v49, v154
	v_cmp_gt_u32_e64 s0, s11, v96
	v_cmp_gt_u32_e32 vcc_lo, s11, v97
	v_cmp_gt_u32_e64 s1, s11, v98
	v_cndmask_b32_e64 v107, v2, v107, s2
	v_cndmask_b32_e64 v106, v1, v106, s2
	v_cndmask_b32_e64 v109, v16, v109, s3
	v_cndmask_b32_e64 v108, v15, v108, s3
	v_cndmask_b32_e64 v111, v14, v111, s4
	v_cndmask_b32_e64 v110, v13, v110, s4
	v_cndmask_b32_e64 v113, v12, v113, s5
	v_cndmask_b32_e64 v112, v11, v112, s5
	v_cndmask_b32_e64 v115, v10, v115, s6
	v_cndmask_b32_e64 v114, v9, v114, s6
	v_cndmask_b32_e64 v117, v24, v117, s7
	v_cndmask_b32_e64 v116, v23, v116, s7
	s_wait_alu 0xf1ff
	v_cndmask_b32_e64 v157, v64, v157, s0
	v_cndmask_b32_e64 v156, v63, v156, s0
	s_wait_alu 0xfffd
	v_dual_cndmask_b32 v159, v62, v159 :: v_dual_cndmask_b32 v158, v61, v158
	v_cndmask_b32_e64 v161, v60, v161, s1
	v_cndmask_b32_e64 v160, v59, v160, s1
	v_add_f64_e32 v[7:8], v[7:8], v[100:101]
	v_add_f64_e32 v[5:6], v[5:6], v[102:103]
	v_add_f64_e32 v[3:4], v[3:4], v[104:105]
	v_add_f64_e32 v[1:2], v[1:2], v[106:107]
	v_add_f64_e32 v[15:16], v[15:16], v[108:109]
	v_add_f64_e32 v[13:14], v[13:14], v[110:111]
	v_add_f64_e32 v[11:12], v[11:12], v[112:113]
	v_add_f64_e32 v[9:10], v[9:10], v[114:115]
	v_add_f64_e32 v[23:24], v[23:24], v[116:117]
	v_add_f64_e32 v[21:22], v[21:22], v[118:119]
	v_add_f64_e32 v[19:20], v[19:20], v[120:121]
	v_add_f64_e32 v[17:18], v[17:18], v[122:123]
	v_add_f64_e32 v[31:32], v[31:32], v[124:125]
	v_add_f64_e32 v[29:30], v[29:30], v[126:127]
	v_add_f64_e32 v[27:28], v[27:28], v[128:129]
	v_add_f64_e32 v[25:26], v[25:26], v[130:131]
	v_add_f64_e32 v[39:40], v[39:40], v[132:133]
	v_add_f64_e32 v[37:38], v[37:38], v[134:135]
	v_add_f64_e32 v[35:36], v[35:36], v[136:137]
	v_add_f64_e32 v[33:34], v[33:34], v[138:139]
	v_add_f64_e32 v[47:48], v[47:48], v[140:141]
	v_add_f64_e32 v[45:46], v[45:46], v[142:143]
	v_add_f64_e32 v[43:44], v[43:44], v[144:145]
	v_add_f64_e32 v[41:42], v[41:42], v[146:147]
	v_add_f64_e32 v[55:56], v[55:56], v[148:149]
	v_add_f64_e32 v[53:54], v[53:54], v[150:151]
	v_add_f64_e32 v[51:52], v[51:52], v[152:153]
	v_add_f64_e32 v[49:50], v[49:50], v[154:155]
	v_add_f64_e32 v[63:64], v[63:64], v[156:157]
	v_add_f64_e32 v[61:62], v[61:62], v[158:159]
	v_add_f64_e32 v[59:60], v[59:60], v[160:161]
	v_add_f64_e32 v[57:58], v[57:58], v[65:66]
	s_add_co_i32 s0, s14, s11
	s_add_co_i32 s10, s10, -1
	s_wait_alu 0xfffe
	s_and_b32 s11, s0, 0x1fff
	s_cmp_lg_u32 s10, 0
	s_wait_loadcnt 0x0
	s_barrier_signal -1
	s_barrier_wait -1
	global_inv scope:SCOPE_SE
	s_cbranch_scc0 .LBB209_4
.LBB209_2:                              ; =>This Inner Loop Header: Depth=1
	s_wait_loadcnt 0x0
	v_dual_mov_b32 v66, v58 :: v_dual_mov_b32 v65, v57
	s_mov_b32 s0, exec_lo
	ds_store_b64 v67, v[7:8] offset:2048
	s_wait_dscnt 0x0
	s_barrier_signal -1
	s_barrier_wait -1
	global_inv scope:SCOPE_SE
	s_wait_kmcnt 0x0
	s_wait_alu 0xfffe
	v_cmpx_gt_u32_e64 s11, v99
	s_cbranch_execz .LBB209_1
; %bb.3:                                ;   in Loop: Header=BB209_2 Depth=1
	ds_load_b64 v[65:66], v67 offset:2056
	s_wait_dscnt 0x0
	v_add_f64_e64 v[65:66], v[57:58], -v[65:66]
	s_branch .LBB209_1
.LBB209_4:
	v_lshlrev_b32_e32 v0, 3, v0
	s_add_nc_u64 s[0:1], s[8:9], s[12:13]
	s_clause 0x1f
	global_store_b64 v0, v[7:8], s[0:1]
	global_store_b64 v0, v[5:6], s[0:1] offset:2048
	global_store_b64 v0, v[3:4], s[0:1] offset:4096
	global_store_b64 v0, v[1:2], s[0:1] offset:6144
	global_store_b64 v0, v[15:16], s[0:1] offset:8192
	global_store_b64 v0, v[13:14], s[0:1] offset:10240
	global_store_b64 v0, v[11:12], s[0:1] offset:12288
	global_store_b64 v0, v[9:10], s[0:1] offset:14336
	global_store_b64 v0, v[23:24], s[0:1] offset:16384
	global_store_b64 v0, v[21:22], s[0:1] offset:18432
	global_store_b64 v0, v[19:20], s[0:1] offset:20480
	global_store_b64 v0, v[17:18], s[0:1] offset:22528
	global_store_b64 v0, v[31:32], s[0:1] offset:24576
	global_store_b64 v0, v[29:30], s[0:1] offset:26624
	global_store_b64 v0, v[27:28], s[0:1] offset:28672
	global_store_b64 v0, v[25:26], s[0:1] offset:30720
	global_store_b64 v0, v[39:40], s[0:1] offset:32768
	global_store_b64 v0, v[37:38], s[0:1] offset:34816
	global_store_b64 v0, v[35:36], s[0:1] offset:36864
	global_store_b64 v0, v[33:34], s[0:1] offset:38912
	global_store_b64 v0, v[47:48], s[0:1] offset:40960
	global_store_b64 v0, v[45:46], s[0:1] offset:43008
	global_store_b64 v0, v[43:44], s[0:1] offset:45056
	global_store_b64 v0, v[41:42], s[0:1] offset:47104
	global_store_b64 v0, v[55:56], s[0:1] offset:49152
	global_store_b64 v0, v[53:54], s[0:1] offset:51200
	global_store_b64 v0, v[51:52], s[0:1] offset:53248
	global_store_b64 v0, v[49:50], s[0:1] offset:55296
	global_store_b64 v0, v[63:64], s[0:1] offset:57344
	global_store_b64 v0, v[61:62], s[0:1] offset:59392
	global_store_b64 v0, v[59:60], s[0:1] offset:61440
	global_store_b64 v0, v[57:58], s[0:1] offset:63488
	s_nop 0
	s_sendmsg sendmsg(MSG_DEALLOC_VGPRS)
	s_endpgm
	.section	.rodata,"a",@progbits
	.p2align	6, 0x0
	.amdhsa_kernel _Z6kernelI27subtract_right_partial_tileLj256ELj32ELb0EJPdPiS1_jEEvDpT3_
		.amdhsa_group_segment_fixed_size 4096
		.amdhsa_private_segment_fixed_size 0
		.amdhsa_kernarg_size 28
		.amdhsa_user_sgpr_count 2
		.amdhsa_user_sgpr_dispatch_ptr 0
		.amdhsa_user_sgpr_queue_ptr 0
		.amdhsa_user_sgpr_kernarg_segment_ptr 1
		.amdhsa_user_sgpr_dispatch_id 0
		.amdhsa_user_sgpr_private_segment_size 0
		.amdhsa_wavefront_size32 1
		.amdhsa_uses_dynamic_stack 0
		.amdhsa_enable_private_segment 0
		.amdhsa_system_sgpr_workgroup_id_x 1
		.amdhsa_system_sgpr_workgroup_id_y 0
		.amdhsa_system_sgpr_workgroup_id_z 0
		.amdhsa_system_sgpr_workgroup_info 0
		.amdhsa_system_vgpr_workitem_id 0
		.amdhsa_next_free_vgpr 162
		.amdhsa_next_free_sgpr 15
		.amdhsa_reserve_vcc 1
		.amdhsa_float_round_mode_32 0
		.amdhsa_float_round_mode_16_64 0
		.amdhsa_float_denorm_mode_32 3
		.amdhsa_float_denorm_mode_16_64 3
		.amdhsa_fp16_overflow 0
		.amdhsa_workgroup_processor_mode 1
		.amdhsa_memory_ordered 1
		.amdhsa_forward_progress 1
		.amdhsa_inst_pref_size 19
		.amdhsa_round_robin_scheduling 0
		.amdhsa_exception_fp_ieee_invalid_op 0
		.amdhsa_exception_fp_denorm_src 0
		.amdhsa_exception_fp_ieee_div_zero 0
		.amdhsa_exception_fp_ieee_overflow 0
		.amdhsa_exception_fp_ieee_underflow 0
		.amdhsa_exception_fp_ieee_inexact 0
		.amdhsa_exception_int_div_zero 0
	.end_amdhsa_kernel
	.section	.text._Z6kernelI27subtract_right_partial_tileLj256ELj32ELb0EJPdPiS1_jEEvDpT3_,"axG",@progbits,_Z6kernelI27subtract_right_partial_tileLj256ELj32ELb0EJPdPiS1_jEEvDpT3_,comdat
.Lfunc_end209:
	.size	_Z6kernelI27subtract_right_partial_tileLj256ELj32ELb0EJPdPiS1_jEEvDpT3_, .Lfunc_end209-_Z6kernelI27subtract_right_partial_tileLj256ELj32ELb0EJPdPiS1_jEEvDpT3_
                                        ; -- End function
	.set _Z6kernelI27subtract_right_partial_tileLj256ELj32ELb0EJPdPiS1_jEEvDpT3_.num_vgpr, 162
	.set _Z6kernelI27subtract_right_partial_tileLj256ELj32ELb0EJPdPiS1_jEEvDpT3_.num_agpr, 0
	.set _Z6kernelI27subtract_right_partial_tileLj256ELj32ELb0EJPdPiS1_jEEvDpT3_.numbered_sgpr, 15
	.set _Z6kernelI27subtract_right_partial_tileLj256ELj32ELb0EJPdPiS1_jEEvDpT3_.num_named_barrier, 0
	.set _Z6kernelI27subtract_right_partial_tileLj256ELj32ELb0EJPdPiS1_jEEvDpT3_.private_seg_size, 0
	.set _Z6kernelI27subtract_right_partial_tileLj256ELj32ELb0EJPdPiS1_jEEvDpT3_.uses_vcc, 1
	.set _Z6kernelI27subtract_right_partial_tileLj256ELj32ELb0EJPdPiS1_jEEvDpT3_.uses_flat_scratch, 0
	.set _Z6kernelI27subtract_right_partial_tileLj256ELj32ELb0EJPdPiS1_jEEvDpT3_.has_dyn_sized_stack, 0
	.set _Z6kernelI27subtract_right_partial_tileLj256ELj32ELb0EJPdPiS1_jEEvDpT3_.has_recursion, 0
	.set _Z6kernelI27subtract_right_partial_tileLj256ELj32ELb0EJPdPiS1_jEEvDpT3_.has_indirect_call, 0
	.section	.AMDGPU.csdata,"",@progbits
; Kernel info:
; codeLenInByte = 2320
; TotalNumSgprs: 17
; NumVgprs: 162
; ScratchSize: 0
; MemoryBound: 0
; FloatMode: 240
; IeeeMode: 1
; LDSByteSize: 4096 bytes/workgroup (compile time only)
; SGPRBlocks: 0
; VGPRBlocks: 20
; NumSGPRsForWavesPerEU: 17
; NumVGPRsForWavesPerEU: 162
; Occupancy: 9
; WaveLimiterHint : 1
; COMPUTE_PGM_RSRC2:SCRATCH_EN: 0
; COMPUTE_PGM_RSRC2:USER_SGPR: 2
; COMPUTE_PGM_RSRC2:TRAP_HANDLER: 0
; COMPUTE_PGM_RSRC2:TGID_X_EN: 1
; COMPUTE_PGM_RSRC2:TGID_Y_EN: 0
; COMPUTE_PGM_RSRC2:TGID_Z_EN: 0
; COMPUTE_PGM_RSRC2:TIDIG_COMP_CNT: 0
	.section	.text._Z6kernelI27subtract_right_partial_tileLj256ELj1ELb1EJPiS1_S1_jEEvDpT3_,"axG",@progbits,_Z6kernelI27subtract_right_partial_tileLj256ELj1ELb1EJPiS1_S1_jEEvDpT3_,comdat
	.protected	_Z6kernelI27subtract_right_partial_tileLj256ELj1ELb1EJPiS1_S1_jEEvDpT3_ ; -- Begin function _Z6kernelI27subtract_right_partial_tileLj256ELj1ELb1EJPiS1_S1_jEEvDpT3_
	.globl	_Z6kernelI27subtract_right_partial_tileLj256ELj1ELb1EJPiS1_S1_jEEvDpT3_
	.p2align	8
	.type	_Z6kernelI27subtract_right_partial_tileLj256ELj1ELb1EJPiS1_S1_jEEvDpT3_,@function
_Z6kernelI27subtract_right_partial_tileLj256ELj1ELb1EJPiS1_S1_jEEvDpT3_: ; @_Z6kernelI27subtract_right_partial_tileLj256ELj1ELb1EJPiS1_S1_jEEvDpT3_
; %bb.0:
	s_load_b128 s[8:11], s[0:1], 0x0
	s_lshl_b32 s6, ttmp9, 8
	s_mov_b32 s7, 0
	v_lshlrev_b32_e32 v2, 2, v0
	s_lshl_b64 s[4:5], s[6:7], 2
	s_load_b96 s[0:2], s[0:1], 0x10
	s_mov_b32 s6, ttmp9
	s_delay_alu instid0(SALU_CYCLE_1)
	s_lshl_b64 s[6:7], s[6:7], 2
	s_wait_kmcnt 0x0
	s_add_nc_u64 s[8:9], s[8:9], s[4:5]
	s_add_nc_u64 s[6:7], s[10:11], s[6:7]
	global_load_b32 v1, v2, s[8:9]
	s_cvt_f32_u32 s3, s2
	s_delay_alu instid0(SALU_CYCLE_3) | instskip(NEXT) | instid1(TRANS32_DEP_1)
	v_rcp_iflag_f32_e32 v3, s3
	v_readfirstlane_b32 s3, v3
	v_add_nc_u32_e32 v3, 1, v0
	s_mul_f32 s3, s3, 0x4f7ffffe
	s_wait_alu 0xfffe
	s_delay_alu instid0(SALU_CYCLE_2) | instskip(SKIP_2) | instid1(SALU_CYCLE_1)
	s_cvt_u32_f32 s8, s3
	s_sub_co_i32 s3, 0, s2
	s_wait_alu 0xfffe
	s_mul_i32 s3, s3, s8
	s_wait_alu 0xfffe
	s_mul_hi_u32 s9, s8, s3
	s_load_b32 s3, s[6:7], 0x0
	s_add_co_i32 s8, s8, s9
	s_delay_alu instid0(SALU_CYCLE_1) | instskip(NEXT) | instid1(SALU_CYCLE_1)
	s_lshr_b32 s6, s8, 24
	s_mul_i32 s7, s6, s2
	s_add_co_i32 s8, s6, 1
	s_sub_co_i32 s7, 0x100, s7
	s_delay_alu instid0(SALU_CYCLE_1)
	s_sub_co_i32 s9, s7, s2
	s_cmp_ge_u32 s7, s2
	s_cselect_b32 s6, s8, s6
	s_cselect_b32 s7, s9, s7
	s_add_co_i32 s8, s6, 1
	s_cmp_ge_u32 s7, s2
	s_cselect_b32 s6, s8, s6
	s_delay_alu instid0(SALU_CYCLE_1)
	s_add_co_i32 s6, s6, 1
	s_branch .LBB210_2
.LBB210_1:                              ;   in Loop: Header=BB210_2 Depth=1
	s_or_b32 exec_lo, exec_lo, s7
	s_add_co_i32 s3, s6, s3
	s_delay_alu instid0(VALU_DEP_1)
	v_add_nc_u32_e32 v1, v4, v1
	s_add_co_i32 s2, s2, -1
	s_wait_alu 0xfffe
	s_and_b32 s3, s3, 0xff
	s_cmp_lg_u32 s2, 0
	s_wait_loadcnt 0x0
	s_barrier_signal -1
	s_barrier_wait -1
	global_inv scope:SCOPE_SE
	s_cbranch_scc0 .LBB210_4
.LBB210_2:                              ; =>This Inner Loop Header: Depth=1
	s_wait_loadcnt 0x0
	v_mov_b32_e32 v4, v1
	s_mov_b32 s7, exec_lo
	ds_store_b32 v2, v1 offset:1024
	s_wait_dscnt 0x0
	s_barrier_signal -1
	s_barrier_wait -1
	global_inv scope:SCOPE_SE
	s_wait_kmcnt 0x0
	s_wait_alu 0xfffe
	v_cmpx_gt_u32_e64 s3, v3
	s_cbranch_execz .LBB210_1
; %bb.3:                                ;   in Loop: Header=BB210_2 Depth=1
	ds_load_b32 v4, v2 offset:1028
	s_wait_dscnt 0x0
	v_sub_nc_u32_e32 v4, v1, v4
	s_branch .LBB210_1
.LBB210_4:
	v_lshlrev_b32_e32 v0, 2, v0
	s_add_nc_u64 s[0:1], s[0:1], s[4:5]
	global_store_b32 v0, v1, s[0:1]
	s_endpgm
	.section	.rodata,"a",@progbits
	.p2align	6, 0x0
	.amdhsa_kernel _Z6kernelI27subtract_right_partial_tileLj256ELj1ELb1EJPiS1_S1_jEEvDpT3_
		.amdhsa_group_segment_fixed_size 2048
		.amdhsa_private_segment_fixed_size 0
		.amdhsa_kernarg_size 28
		.amdhsa_user_sgpr_count 2
		.amdhsa_user_sgpr_dispatch_ptr 0
		.amdhsa_user_sgpr_queue_ptr 0
		.amdhsa_user_sgpr_kernarg_segment_ptr 1
		.amdhsa_user_sgpr_dispatch_id 0
		.amdhsa_user_sgpr_private_segment_size 0
		.amdhsa_wavefront_size32 1
		.amdhsa_uses_dynamic_stack 0
		.amdhsa_enable_private_segment 0
		.amdhsa_system_sgpr_workgroup_id_x 1
		.amdhsa_system_sgpr_workgroup_id_y 0
		.amdhsa_system_sgpr_workgroup_id_z 0
		.amdhsa_system_sgpr_workgroup_info 0
		.amdhsa_system_vgpr_workitem_id 0
		.amdhsa_next_free_vgpr 5
		.amdhsa_next_free_sgpr 12
		.amdhsa_reserve_vcc 0
		.amdhsa_float_round_mode_32 0
		.amdhsa_float_round_mode_16_64 0
		.amdhsa_float_denorm_mode_32 3
		.amdhsa_float_denorm_mode_16_64 3
		.amdhsa_fp16_overflow 0
		.amdhsa_workgroup_processor_mode 1
		.amdhsa_memory_ordered 1
		.amdhsa_forward_progress 1
		.amdhsa_inst_pref_size 3
		.amdhsa_round_robin_scheduling 0
		.amdhsa_exception_fp_ieee_invalid_op 0
		.amdhsa_exception_fp_denorm_src 0
		.amdhsa_exception_fp_ieee_div_zero 0
		.amdhsa_exception_fp_ieee_overflow 0
		.amdhsa_exception_fp_ieee_underflow 0
		.amdhsa_exception_fp_ieee_inexact 0
		.amdhsa_exception_int_div_zero 0
	.end_amdhsa_kernel
	.section	.text._Z6kernelI27subtract_right_partial_tileLj256ELj1ELb1EJPiS1_S1_jEEvDpT3_,"axG",@progbits,_Z6kernelI27subtract_right_partial_tileLj256ELj1ELb1EJPiS1_S1_jEEvDpT3_,comdat
.Lfunc_end210:
	.size	_Z6kernelI27subtract_right_partial_tileLj256ELj1ELb1EJPiS1_S1_jEEvDpT3_, .Lfunc_end210-_Z6kernelI27subtract_right_partial_tileLj256ELj1ELb1EJPiS1_S1_jEEvDpT3_
                                        ; -- End function
	.set _Z6kernelI27subtract_right_partial_tileLj256ELj1ELb1EJPiS1_S1_jEEvDpT3_.num_vgpr, 5
	.set _Z6kernelI27subtract_right_partial_tileLj256ELj1ELb1EJPiS1_S1_jEEvDpT3_.num_agpr, 0
	.set _Z6kernelI27subtract_right_partial_tileLj256ELj1ELb1EJPiS1_S1_jEEvDpT3_.numbered_sgpr, 12
	.set _Z6kernelI27subtract_right_partial_tileLj256ELj1ELb1EJPiS1_S1_jEEvDpT3_.num_named_barrier, 0
	.set _Z6kernelI27subtract_right_partial_tileLj256ELj1ELb1EJPiS1_S1_jEEvDpT3_.private_seg_size, 0
	.set _Z6kernelI27subtract_right_partial_tileLj256ELj1ELb1EJPiS1_S1_jEEvDpT3_.uses_vcc, 0
	.set _Z6kernelI27subtract_right_partial_tileLj256ELj1ELb1EJPiS1_S1_jEEvDpT3_.uses_flat_scratch, 0
	.set _Z6kernelI27subtract_right_partial_tileLj256ELj1ELb1EJPiS1_S1_jEEvDpT3_.has_dyn_sized_stack, 0
	.set _Z6kernelI27subtract_right_partial_tileLj256ELj1ELb1EJPiS1_S1_jEEvDpT3_.has_recursion, 0
	.set _Z6kernelI27subtract_right_partial_tileLj256ELj1ELb1EJPiS1_S1_jEEvDpT3_.has_indirect_call, 0
	.section	.AMDGPU.csdata,"",@progbits
; Kernel info:
; codeLenInByte = 380
; TotalNumSgprs: 12
; NumVgprs: 5
; ScratchSize: 0
; MemoryBound: 0
; FloatMode: 240
; IeeeMode: 1
; LDSByteSize: 2048 bytes/workgroup (compile time only)
; SGPRBlocks: 0
; VGPRBlocks: 0
; NumSGPRsForWavesPerEU: 12
; NumVGPRsForWavesPerEU: 5
; Occupancy: 16
; WaveLimiterHint : 0
; COMPUTE_PGM_RSRC2:SCRATCH_EN: 0
; COMPUTE_PGM_RSRC2:USER_SGPR: 2
; COMPUTE_PGM_RSRC2:TRAP_HANDLER: 0
; COMPUTE_PGM_RSRC2:TGID_X_EN: 1
; COMPUTE_PGM_RSRC2:TGID_Y_EN: 0
; COMPUTE_PGM_RSRC2:TGID_Z_EN: 0
; COMPUTE_PGM_RSRC2:TIDIG_COMP_CNT: 0
	.section	.text._Z6kernelI27subtract_right_partial_tileLj256ELj3ELb1EJPiS1_S1_jEEvDpT3_,"axG",@progbits,_Z6kernelI27subtract_right_partial_tileLj256ELj3ELb1EJPiS1_S1_jEEvDpT3_,comdat
	.protected	_Z6kernelI27subtract_right_partial_tileLj256ELj3ELb1EJPiS1_S1_jEEvDpT3_ ; -- Begin function _Z6kernelI27subtract_right_partial_tileLj256ELj3ELb1EJPiS1_S1_jEEvDpT3_
	.globl	_Z6kernelI27subtract_right_partial_tileLj256ELj3ELb1EJPiS1_S1_jEEvDpT3_
	.p2align	8
	.type	_Z6kernelI27subtract_right_partial_tileLj256ELj3ELb1EJPiS1_S1_jEEvDpT3_,@function
_Z6kernelI27subtract_right_partial_tileLj256ELj3ELb1EJPiS1_S1_jEEvDpT3_: ; @_Z6kernelI27subtract_right_partial_tileLj256ELj3ELb1EJPiS1_S1_jEEvDpT3_
; %bb.0:
	s_load_b128 s[8:11], s[0:1], 0x0
	s_mul_i32 s6, ttmp9, 0x300
	s_mov_b32 s7, 0
	v_lshlrev_b32_e32 v4, 2, v0
	s_lshl_b64 s[4:5], s[6:7], 2
	s_load_b96 s[0:2], s[0:1], 0x10
	v_mad_u32_u24 v6, v0, 3, 2
	v_mad_u32_u24 v7, v0, 3, 3
	s_wait_kmcnt 0x0
	s_add_nc_u64 s[8:9], s[8:9], s[4:5]
	s_clause 0x2
	global_load_b32 v1, v4, s[8:9]
	global_load_b32 v2, v4, s[8:9] offset:1024
	global_load_b32 v3, v4, s[8:9] offset:2048
	s_cvt_f32_u32 s3, s2
	s_sub_co_i32 s6, 0, s2
	s_delay_alu instid0(SALU_CYCLE_2) | instskip(NEXT) | instid1(TRANS32_DEP_1)
	v_rcp_iflag_f32_e32 v5, s3
	v_readfirstlane_b32 s3, v5
	v_mad_u32_u24 v5, v0, 3, 1
	s_mul_f32 s3, s3, 0x4f7ffffe
	s_wait_alu 0xfffe
	s_delay_alu instid0(SALU_CYCLE_2) | instskip(SKIP_1) | instid1(SALU_CYCLE_2)
	s_cvt_u32_f32 s3, s3
	s_wait_alu 0xfffe
	s_mul_i32 s8, s6, s3
	s_mov_b32 s6, ttmp9
	s_mul_hi_u32 s8, s3, s8
	s_lshl_b64 s[6:7], s[6:7], 2
	s_add_co_i32 s8, s3, s8
	s_add_nc_u64 s[6:7], s[10:11], s[6:7]
	s_load_b32 s3, s[6:7], 0x0
	s_mul_hi_u32 s6, s8, 0x300
	s_delay_alu instid0(SALU_CYCLE_1) | instskip(SKIP_2) | instid1(SALU_CYCLE_1)
	s_mul_i32 s7, s6, s2
	s_add_co_i32 s8, s6, 1
	s_sub_co_i32 s7, 0x300, s7
	s_sub_co_i32 s9, s7, s2
	s_cmp_ge_u32 s7, s2
	s_cselect_b32 s6, s8, s6
	s_cselect_b32 s7, s9, s7
	s_add_co_i32 s8, s6, 1
	s_cmp_ge_u32 s7, s2
	s_cselect_b32 s6, s8, s6
	s_delay_alu instid0(SALU_CYCLE_1)
	s_add_co_i32 s6, s6, 1
	s_branch .LBB211_2
.LBB211_1:                              ;   in Loop: Header=BB211_2 Depth=1
	s_or_b32 exec_lo, exec_lo, s7
	s_add_co_i32 s3, s6, s3
	v_add_nc_u32_e32 v1, v8, v1
	s_wait_alu 0xfffe
	s_mul_hi_u32 s7, s3, 0xaaaaaaab
	v_add_nc_u32_e32 v2, v9, v2
	s_lshr_b32 s7, s7, 9
	v_add_nc_u32_e32 v3, v10, v3
	s_mulk_i32 s7, 0x300
	s_add_co_i32 s2, s2, -1
	s_sub_co_i32 s3, s3, s7
	s_wait_alu 0xfffe
	s_cmp_lg_u32 s2, 0
	s_wait_loadcnt 0x0
	s_barrier_signal -1
	s_barrier_wait -1
	global_inv scope:SCOPE_SE
	s_cbranch_scc0 .LBB211_4
.LBB211_2:                              ; =>This Inner Loop Header: Depth=1
	s_wait_loadcnt 0x1
	v_sub_nc_u32_e32 v8, v1, v2
	s_wait_kmcnt 0x0
	v_cmp_gt_u32_e32 vcc_lo, s3, v5
	s_wait_loadcnt 0x0
	v_sub_nc_u32_e32 v9, v2, v3
	v_mov_b32_e32 v10, v3
	s_mov_b32 s7, exec_lo
	ds_store_b32 v4, v1 offset:1024
	s_wait_alu 0xfffd
	v_cndmask_b32_e32 v8, v1, v8, vcc_lo
	v_cmp_gt_u32_e32 vcc_lo, s3, v6
	s_wait_dscnt 0x0
	s_barrier_signal -1
	s_barrier_wait -1
	global_inv scope:SCOPE_SE
	s_wait_alu 0xfffd
	v_cndmask_b32_e32 v9, v2, v9, vcc_lo
	v_cmpx_gt_u32_e64 s3, v7
	s_cbranch_execz .LBB211_1
; %bb.3:                                ;   in Loop: Header=BB211_2 Depth=1
	ds_load_b32 v10, v4 offset:1028
	s_wait_dscnt 0x0
	v_sub_nc_u32_e32 v10, v3, v10
	s_branch .LBB211_1
.LBB211_4:
	v_lshlrev_b32_e32 v0, 2, v0
	s_add_nc_u64 s[0:1], s[0:1], s[4:5]
	s_clause 0x2
	global_store_b32 v0, v1, s[0:1]
	global_store_b32 v0, v2, s[0:1] offset:1024
	global_store_b32 v0, v3, s[0:1] offset:2048
	s_endpgm
	.section	.rodata,"a",@progbits
	.p2align	6, 0x0
	.amdhsa_kernel _Z6kernelI27subtract_right_partial_tileLj256ELj3ELb1EJPiS1_S1_jEEvDpT3_
		.amdhsa_group_segment_fixed_size 2048
		.amdhsa_private_segment_fixed_size 0
		.amdhsa_kernarg_size 28
		.amdhsa_user_sgpr_count 2
		.amdhsa_user_sgpr_dispatch_ptr 0
		.amdhsa_user_sgpr_queue_ptr 0
		.amdhsa_user_sgpr_kernarg_segment_ptr 1
		.amdhsa_user_sgpr_dispatch_id 0
		.amdhsa_user_sgpr_private_segment_size 0
		.amdhsa_wavefront_size32 1
		.amdhsa_uses_dynamic_stack 0
		.amdhsa_enable_private_segment 0
		.amdhsa_system_sgpr_workgroup_id_x 1
		.amdhsa_system_sgpr_workgroup_id_y 0
		.amdhsa_system_sgpr_workgroup_id_z 0
		.amdhsa_system_sgpr_workgroup_info 0
		.amdhsa_system_vgpr_workitem_id 0
		.amdhsa_next_free_vgpr 11
		.amdhsa_next_free_sgpr 12
		.amdhsa_reserve_vcc 1
		.amdhsa_float_round_mode_32 0
		.amdhsa_float_round_mode_16_64 0
		.amdhsa_float_denorm_mode_32 3
		.amdhsa_float_denorm_mode_16_64 3
		.amdhsa_fp16_overflow 0
		.amdhsa_workgroup_processor_mode 1
		.amdhsa_memory_ordered 1
		.amdhsa_forward_progress 1
		.amdhsa_inst_pref_size 4
		.amdhsa_round_robin_scheduling 0
		.amdhsa_exception_fp_ieee_invalid_op 0
		.amdhsa_exception_fp_denorm_src 0
		.amdhsa_exception_fp_ieee_div_zero 0
		.amdhsa_exception_fp_ieee_overflow 0
		.amdhsa_exception_fp_ieee_underflow 0
		.amdhsa_exception_fp_ieee_inexact 0
		.amdhsa_exception_int_div_zero 0
	.end_amdhsa_kernel
	.section	.text._Z6kernelI27subtract_right_partial_tileLj256ELj3ELb1EJPiS1_S1_jEEvDpT3_,"axG",@progbits,_Z6kernelI27subtract_right_partial_tileLj256ELj3ELb1EJPiS1_S1_jEEvDpT3_,comdat
.Lfunc_end211:
	.size	_Z6kernelI27subtract_right_partial_tileLj256ELj3ELb1EJPiS1_S1_jEEvDpT3_, .Lfunc_end211-_Z6kernelI27subtract_right_partial_tileLj256ELj3ELb1EJPiS1_S1_jEEvDpT3_
                                        ; -- End function
	.set _Z6kernelI27subtract_right_partial_tileLj256ELj3ELb1EJPiS1_S1_jEEvDpT3_.num_vgpr, 11
	.set _Z6kernelI27subtract_right_partial_tileLj256ELj3ELb1EJPiS1_S1_jEEvDpT3_.num_agpr, 0
	.set _Z6kernelI27subtract_right_partial_tileLj256ELj3ELb1EJPiS1_S1_jEEvDpT3_.numbered_sgpr, 12
	.set _Z6kernelI27subtract_right_partial_tileLj256ELj3ELb1EJPiS1_S1_jEEvDpT3_.num_named_barrier, 0
	.set _Z6kernelI27subtract_right_partial_tileLj256ELj3ELb1EJPiS1_S1_jEEvDpT3_.private_seg_size, 0
	.set _Z6kernelI27subtract_right_partial_tileLj256ELj3ELb1EJPiS1_S1_jEEvDpT3_.uses_vcc, 1
	.set _Z6kernelI27subtract_right_partial_tileLj256ELj3ELb1EJPiS1_S1_jEEvDpT3_.uses_flat_scratch, 0
	.set _Z6kernelI27subtract_right_partial_tileLj256ELj3ELb1EJPiS1_S1_jEEvDpT3_.has_dyn_sized_stack, 0
	.set _Z6kernelI27subtract_right_partial_tileLj256ELj3ELb1EJPiS1_S1_jEEvDpT3_.has_recursion, 0
	.set _Z6kernelI27subtract_right_partial_tileLj256ELj3ELb1EJPiS1_S1_jEEvDpT3_.has_indirect_call, 0
	.section	.AMDGPU.csdata,"",@progbits
; Kernel info:
; codeLenInByte = 504
; TotalNumSgprs: 14
; NumVgprs: 11
; ScratchSize: 0
; MemoryBound: 0
; FloatMode: 240
; IeeeMode: 1
; LDSByteSize: 2048 bytes/workgroup (compile time only)
; SGPRBlocks: 0
; VGPRBlocks: 1
; NumSGPRsForWavesPerEU: 14
; NumVGPRsForWavesPerEU: 11
; Occupancy: 16
; WaveLimiterHint : 1
; COMPUTE_PGM_RSRC2:SCRATCH_EN: 0
; COMPUTE_PGM_RSRC2:USER_SGPR: 2
; COMPUTE_PGM_RSRC2:TRAP_HANDLER: 0
; COMPUTE_PGM_RSRC2:TGID_X_EN: 1
; COMPUTE_PGM_RSRC2:TGID_Y_EN: 0
; COMPUTE_PGM_RSRC2:TGID_Z_EN: 0
; COMPUTE_PGM_RSRC2:TIDIG_COMP_CNT: 0
	.section	.text._Z6kernelI27subtract_right_partial_tileLj256ELj4ELb1EJPiS1_S1_jEEvDpT3_,"axG",@progbits,_Z6kernelI27subtract_right_partial_tileLj256ELj4ELb1EJPiS1_S1_jEEvDpT3_,comdat
	.protected	_Z6kernelI27subtract_right_partial_tileLj256ELj4ELb1EJPiS1_S1_jEEvDpT3_ ; -- Begin function _Z6kernelI27subtract_right_partial_tileLj256ELj4ELb1EJPiS1_S1_jEEvDpT3_
	.globl	_Z6kernelI27subtract_right_partial_tileLj256ELj4ELb1EJPiS1_S1_jEEvDpT3_
	.p2align	8
	.type	_Z6kernelI27subtract_right_partial_tileLj256ELj4ELb1EJPiS1_S1_jEEvDpT3_,@function
_Z6kernelI27subtract_right_partial_tileLj256ELj4ELb1EJPiS1_S1_jEEvDpT3_: ; @_Z6kernelI27subtract_right_partial_tileLj256ELj4ELb1EJPiS1_S1_jEEvDpT3_
; %bb.0:
	s_load_b128 s[8:11], s[0:1], 0x0
	s_lshl_b32 s6, ttmp9, 10
	s_mov_b32 s7, 0
	v_lshlrev_b32_e32 v5, 2, v0
	s_lshl_b64 s[4:5], s[6:7], 2
	s_load_b96 s[0:2], s[0:1], 0x10
	s_delay_alu instid0(VALU_DEP_1)
	v_or_b32_e32 v7, 2, v5
	v_or_b32_e32 v8, 3, v5
	v_add_nc_u32_e32 v9, 4, v5
	s_wait_kmcnt 0x0
	s_add_nc_u64 s[8:9], s[8:9], s[4:5]
	s_clause 0x3
	global_load_b32 v1, v5, s[8:9]
	global_load_b32 v2, v5, s[8:9] offset:1024
	global_load_b32 v3, v5, s[8:9] offset:2048
	;; [unrolled: 1-line block ×3, first 2 shown]
	s_cvt_f32_u32 s3, s2
	s_sub_co_i32 s6, 0, s2
	s_delay_alu instid0(SALU_CYCLE_2) | instskip(NEXT) | instid1(TRANS32_DEP_1)
	v_rcp_iflag_f32_e32 v6, s3
	v_readfirstlane_b32 s3, v6
	v_or_b32_e32 v6, 1, v5
	s_mul_f32 s3, s3, 0x4f7ffffe
	s_wait_alu 0xfffe
	s_delay_alu instid0(SALU_CYCLE_2) | instskip(SKIP_1) | instid1(SALU_CYCLE_2)
	s_cvt_u32_f32 s3, s3
	s_wait_alu 0xfffe
	s_mul_i32 s6, s6, s3
	s_delay_alu instid0(SALU_CYCLE_1)
	s_mul_hi_u32 s8, s3, s6
	s_mov_b32 s6, ttmp9
	s_add_co_i32 s3, s3, s8
	s_lshl_b64 s[6:7], s[6:7], 2
	s_wait_alu 0xfffe
	s_lshr_b32 s8, s3, 22
	s_add_nc_u64 s[6:7], s[10:11], s[6:7]
	s_load_b32 s3, s[6:7], 0x0
	s_mul_i32 s6, s8, s2
	s_add_co_i32 s7, s8, 1
	s_sub_co_i32 s6, 0x400, s6
	s_delay_alu instid0(SALU_CYCLE_1)
	s_sub_co_i32 s9, s6, s2
	s_cmp_ge_u32 s6, s2
	s_cselect_b32 s7, s7, s8
	s_cselect_b32 s6, s9, s6
	s_add_co_i32 s8, s7, 1
	s_cmp_ge_u32 s6, s2
	s_cselect_b32 s6, s8, s7
	s_delay_alu instid0(SALU_CYCLE_1)
	s_add_co_i32 s6, s6, 1
	s_branch .LBB212_2
.LBB212_1:                              ;   in Loop: Header=BB212_2 Depth=1
	s_or_b32 exec_lo, exec_lo, s7
	v_add_nc_u32_e32 v1, v10, v1
	v_add_nc_u32_e32 v2, v11, v2
	;; [unrolled: 1-line block ×3, first 2 shown]
	s_add_co_i32 s3, s6, s3
	v_add_nc_u32_e32 v4, v13, v4
	s_add_co_i32 s2, s2, -1
	s_wait_alu 0xfffe
	s_and_b32 s3, s3, 0x3ff
	s_cmp_lg_u32 s2, 0
	s_wait_loadcnt 0x0
	s_barrier_signal -1
	s_barrier_wait -1
	global_inv scope:SCOPE_SE
	s_cbranch_scc0 .LBB212_4
.LBB212_2:                              ; =>This Inner Loop Header: Depth=1
	s_wait_loadcnt 0x2
	v_sub_nc_u32_e32 v10, v1, v2
	s_wait_kmcnt 0x0
	s_wait_alu 0xfffe
	v_cmp_gt_u32_e32 vcc_lo, s3, v6
	s_wait_loadcnt 0x1
	v_sub_nc_u32_e32 v11, v2, v3
	s_wait_loadcnt 0x0
	v_sub_nc_u32_e32 v12, v3, v4
	s_mov_b32 s7, exec_lo
	ds_store_b32 v5, v1 offset:1024
	s_wait_alu 0xfffd
	v_cndmask_b32_e32 v10, v1, v10, vcc_lo
	v_cmp_gt_u32_e32 vcc_lo, s3, v7
	s_wait_dscnt 0x0
	s_barrier_signal -1
	s_barrier_wait -1
	global_inv scope:SCOPE_SE
	s_wait_alu 0xfffd
	v_cndmask_b32_e32 v11, v2, v11, vcc_lo
	v_cmp_gt_u32_e32 vcc_lo, s3, v8
	s_wait_alu 0xfffd
	v_dual_mov_b32 v13, v4 :: v_dual_cndmask_b32 v12, v3, v12
	v_cmpx_gt_u32_e64 s3, v9
	s_cbranch_execz .LBB212_1
; %bb.3:                                ;   in Loop: Header=BB212_2 Depth=1
	ds_load_b32 v13, v5 offset:1028
	s_wait_dscnt 0x0
	v_sub_nc_u32_e32 v13, v4, v13
	s_branch .LBB212_1
.LBB212_4:
	v_lshlrev_b32_e32 v0, 2, v0
	s_add_nc_u64 s[0:1], s[0:1], s[4:5]
	s_clause 0x3
	global_store_b32 v0, v1, s[0:1]
	global_store_b32 v0, v2, s[0:1] offset:1024
	global_store_b32 v0, v3, s[0:1] offset:2048
	;; [unrolled: 1-line block ×3, first 2 shown]
	s_endpgm
	.section	.rodata,"a",@progbits
	.p2align	6, 0x0
	.amdhsa_kernel _Z6kernelI27subtract_right_partial_tileLj256ELj4ELb1EJPiS1_S1_jEEvDpT3_
		.amdhsa_group_segment_fixed_size 2048
		.amdhsa_private_segment_fixed_size 0
		.amdhsa_kernarg_size 28
		.amdhsa_user_sgpr_count 2
		.amdhsa_user_sgpr_dispatch_ptr 0
		.amdhsa_user_sgpr_queue_ptr 0
		.amdhsa_user_sgpr_kernarg_segment_ptr 1
		.amdhsa_user_sgpr_dispatch_id 0
		.amdhsa_user_sgpr_private_segment_size 0
		.amdhsa_wavefront_size32 1
		.amdhsa_uses_dynamic_stack 0
		.amdhsa_enable_private_segment 0
		.amdhsa_system_sgpr_workgroup_id_x 1
		.amdhsa_system_sgpr_workgroup_id_y 0
		.amdhsa_system_sgpr_workgroup_id_z 0
		.amdhsa_system_sgpr_workgroup_info 0
		.amdhsa_system_vgpr_workitem_id 0
		.amdhsa_next_free_vgpr 14
		.amdhsa_next_free_sgpr 12
		.amdhsa_reserve_vcc 1
		.amdhsa_float_round_mode_32 0
		.amdhsa_float_round_mode_16_64 0
		.amdhsa_float_denorm_mode_32 3
		.amdhsa_float_denorm_mode_16_64 3
		.amdhsa_fp16_overflow 0
		.amdhsa_workgroup_processor_mode 1
		.amdhsa_memory_ordered 1
		.amdhsa_forward_progress 1
		.amdhsa_inst_pref_size 5
		.amdhsa_round_robin_scheduling 0
		.amdhsa_exception_fp_ieee_invalid_op 0
		.amdhsa_exception_fp_denorm_src 0
		.amdhsa_exception_fp_ieee_div_zero 0
		.amdhsa_exception_fp_ieee_overflow 0
		.amdhsa_exception_fp_ieee_underflow 0
		.amdhsa_exception_fp_ieee_inexact 0
		.amdhsa_exception_int_div_zero 0
	.end_amdhsa_kernel
	.section	.text._Z6kernelI27subtract_right_partial_tileLj256ELj4ELb1EJPiS1_S1_jEEvDpT3_,"axG",@progbits,_Z6kernelI27subtract_right_partial_tileLj256ELj4ELb1EJPiS1_S1_jEEvDpT3_,comdat
.Lfunc_end212:
	.size	_Z6kernelI27subtract_right_partial_tileLj256ELj4ELb1EJPiS1_S1_jEEvDpT3_, .Lfunc_end212-_Z6kernelI27subtract_right_partial_tileLj256ELj4ELb1EJPiS1_S1_jEEvDpT3_
                                        ; -- End function
	.set _Z6kernelI27subtract_right_partial_tileLj256ELj4ELb1EJPiS1_S1_jEEvDpT3_.num_vgpr, 14
	.set _Z6kernelI27subtract_right_partial_tileLj256ELj4ELb1EJPiS1_S1_jEEvDpT3_.num_agpr, 0
	.set _Z6kernelI27subtract_right_partial_tileLj256ELj4ELb1EJPiS1_S1_jEEvDpT3_.numbered_sgpr, 12
	.set _Z6kernelI27subtract_right_partial_tileLj256ELj4ELb1EJPiS1_S1_jEEvDpT3_.num_named_barrier, 0
	.set _Z6kernelI27subtract_right_partial_tileLj256ELj4ELb1EJPiS1_S1_jEEvDpT3_.private_seg_size, 0
	.set _Z6kernelI27subtract_right_partial_tileLj256ELj4ELb1EJPiS1_S1_jEEvDpT3_.uses_vcc, 1
	.set _Z6kernelI27subtract_right_partial_tileLj256ELj4ELb1EJPiS1_S1_jEEvDpT3_.uses_flat_scratch, 0
	.set _Z6kernelI27subtract_right_partial_tileLj256ELj4ELb1EJPiS1_S1_jEEvDpT3_.has_dyn_sized_stack, 0
	.set _Z6kernelI27subtract_right_partial_tileLj256ELj4ELb1EJPiS1_S1_jEEvDpT3_.has_recursion, 0
	.set _Z6kernelI27subtract_right_partial_tileLj256ELj4ELb1EJPiS1_S1_jEEvDpT3_.has_indirect_call, 0
	.section	.AMDGPU.csdata,"",@progbits
; Kernel info:
; codeLenInByte = 536
; TotalNumSgprs: 14
; NumVgprs: 14
; ScratchSize: 0
; MemoryBound: 0
; FloatMode: 240
; IeeeMode: 1
; LDSByteSize: 2048 bytes/workgroup (compile time only)
; SGPRBlocks: 0
; VGPRBlocks: 1
; NumSGPRsForWavesPerEU: 14
; NumVGPRsForWavesPerEU: 14
; Occupancy: 16
; WaveLimiterHint : 1
; COMPUTE_PGM_RSRC2:SCRATCH_EN: 0
; COMPUTE_PGM_RSRC2:USER_SGPR: 2
; COMPUTE_PGM_RSRC2:TRAP_HANDLER: 0
; COMPUTE_PGM_RSRC2:TGID_X_EN: 1
; COMPUTE_PGM_RSRC2:TGID_Y_EN: 0
; COMPUTE_PGM_RSRC2:TGID_Z_EN: 0
; COMPUTE_PGM_RSRC2:TIDIG_COMP_CNT: 0
	.section	.text._Z6kernelI27subtract_right_partial_tileLj256ELj8ELb1EJPiS1_S1_jEEvDpT3_,"axG",@progbits,_Z6kernelI27subtract_right_partial_tileLj256ELj8ELb1EJPiS1_S1_jEEvDpT3_,comdat
	.protected	_Z6kernelI27subtract_right_partial_tileLj256ELj8ELb1EJPiS1_S1_jEEvDpT3_ ; -- Begin function _Z6kernelI27subtract_right_partial_tileLj256ELj8ELb1EJPiS1_S1_jEEvDpT3_
	.globl	_Z6kernelI27subtract_right_partial_tileLj256ELj8ELb1EJPiS1_S1_jEEvDpT3_
	.p2align	8
	.type	_Z6kernelI27subtract_right_partial_tileLj256ELj8ELb1EJPiS1_S1_jEEvDpT3_,@function
_Z6kernelI27subtract_right_partial_tileLj256ELj8ELb1EJPiS1_S1_jEEvDpT3_: ; @_Z6kernelI27subtract_right_partial_tileLj256ELj8ELb1EJPiS1_S1_jEEvDpT3_
; %bb.0:
	s_load_b128 s[8:11], s[0:1], 0x0
	s_lshl_b32 s6, ttmp9, 11
	s_mov_b32 s7, 0
	v_lshlrev_b32_e32 v9, 2, v0
	s_lshl_b64 s[4:5], s[6:7], 2
	s_load_b96 s[0:2], s[0:1], 0x10
	v_lshlrev_b32_e32 v17, 3, v0
	s_delay_alu instid0(VALU_DEP_1)
	v_or_b32_e32 v11, 2, v17
	v_or_b32_e32 v12, 3, v17
	;; [unrolled: 1-line block ×6, first 2 shown]
	s_wait_kmcnt 0x0
	s_add_nc_u64 s[8:9], s[8:9], s[4:5]
	s_clause 0x7
	global_load_b32 v1, v9, s[8:9]
	global_load_b32 v2, v9, s[8:9] offset:1024
	global_load_b32 v3, v9, s[8:9] offset:2048
	;; [unrolled: 1-line block ×7, first 2 shown]
	s_cvt_f32_u32 s3, s2
	s_sub_co_i32 s6, 0, s2
	s_delay_alu instid0(SALU_CYCLE_2) | instskip(NEXT) | instid1(TRANS32_DEP_1)
	v_rcp_iflag_f32_e32 v10, s3
	v_readfirstlane_b32 s3, v10
	v_or_b32_e32 v10, 1, v17
	v_add_nc_u32_e32 v17, 8, v17
	s_mul_f32 s3, s3, 0x4f7ffffe
	s_wait_alu 0xfffe
	s_delay_alu instid0(SALU_CYCLE_2) | instskip(SKIP_1) | instid1(SALU_CYCLE_2)
	s_cvt_u32_f32 s3, s3
	s_wait_alu 0xfffe
	s_mul_i32 s6, s6, s3
	s_delay_alu instid0(SALU_CYCLE_1) | instskip(NEXT) | instid1(SALU_CYCLE_1)
	s_mul_hi_u32 s6, s3, s6
	s_add_co_i32 s3, s3, s6
	s_mov_b32 s6, ttmp9
	s_wait_alu 0xfffe
	s_lshr_b32 s8, s3, 21
	s_lshl_b64 s[6:7], s[6:7], 2
	s_mul_i32 s9, s8, s2
	s_add_nc_u64 s[6:7], s[10:11], s[6:7]
	s_load_b32 s3, s[6:7], 0x0
	s_sub_co_i32 s6, 0x800, s9
	s_add_co_i32 s7, s8, 1
	s_sub_co_i32 s9, s6, s2
	s_cmp_ge_u32 s6, s2
	s_cselect_b32 s7, s7, s8
	s_cselect_b32 s6, s9, s6
	s_add_co_i32 s8, s7, 1
	s_cmp_ge_u32 s6, s2
	s_cselect_b32 s6, s8, s7
	s_delay_alu instid0(SALU_CYCLE_1)
	s_add_co_i32 s6, s6, 1
	s_branch .LBB213_2
.LBB213_1:                              ;   in Loop: Header=BB213_2 Depth=1
	s_or_b32 exec_lo, exec_lo, s7
	v_cmp_gt_u32_e32 vcc_lo, s3, v10
	s_add_co_i32 s2, s2, -1
	s_wait_loadcnt 0x0
	s_barrier_signal -1
	s_barrier_wait -1
	s_wait_alu 0xfffd
	v_cndmask_b32_e32 v19, 0, v2, vcc_lo
	v_cmp_gt_u32_e32 vcc_lo, s3, v11
	global_inv scope:SCOPE_SE
	s_wait_alu 0xfffd
	v_cndmask_b32_e32 v20, 0, v3, vcc_lo
	v_cmp_gt_u32_e32 vcc_lo, s3, v12
	v_sub_nc_u32_e32 v19, v1, v19
	s_delay_alu instid0(VALU_DEP_3)
	v_sub_nc_u32_e32 v20, v2, v20
	s_wait_alu 0xfffd
	v_cndmask_b32_e32 v21, 0, v4, vcc_lo
	v_cmp_gt_u32_e32 vcc_lo, s3, v13
	v_add_nc_u32_e32 v1, v19, v1
	v_add_nc_u32_e32 v2, v20, v2
	s_wait_alu 0xfffd
	v_cndmask_b32_e32 v22, 0, v5, vcc_lo
	v_cmp_gt_u32_e32 vcc_lo, s3, v14
	v_sub_nc_u32_e32 v21, v3, v21
	s_delay_alu instid0(VALU_DEP_3)
	v_sub_nc_u32_e32 v22, v4, v22
	s_wait_alu 0xfffd
	v_cndmask_b32_e32 v23, 0, v6, vcc_lo
	v_cmp_gt_u32_e32 vcc_lo, s3, v15
	v_add_nc_u32_e32 v3, v21, v3
	v_add_nc_u32_e32 v4, v22, v4
	s_wait_alu 0xfffd
	v_cndmask_b32_e32 v24, 0, v7, vcc_lo
	v_cmp_gt_u32_e32 vcc_lo, s3, v16
	v_sub_nc_u32_e32 v23, v5, v23
	s_add_co_i32 s3, s6, s3
	s_delay_alu instid0(VALU_DEP_3)
	v_sub_nc_u32_e32 v24, v6, v24
	s_wait_alu 0xfffd
	v_cndmask_b32_e32 v25, 0, v8, vcc_lo
	v_add_nc_u32_e32 v5, v23, v5
	v_add_nc_u32_e32 v8, v18, v8
	s_wait_alu 0xfffe
	s_and_b32 s3, s3, 0x7ff
	v_add_nc_u32_e32 v6, v24, v6
	v_sub_nc_u32_e32 v25, v7, v25
	s_cmp_lg_u32 s2, 0
	s_delay_alu instid0(VALU_DEP_1)
	v_add_nc_u32_e32 v7, v25, v7
	s_cbranch_scc0 .LBB213_4
.LBB213_2:                              ; =>This Inner Loop Header: Depth=1
	s_wait_loadcnt 0x0
	v_mov_b32_e32 v18, v8
	s_mov_b32 s7, exec_lo
	ds_store_b32 v9, v1 offset:1024
	s_wait_dscnt 0x0
	s_barrier_signal -1
	s_barrier_wait -1
	global_inv scope:SCOPE_SE
	s_wait_kmcnt 0x0
	s_wait_alu 0xfffe
	v_cmpx_gt_u32_e64 s3, v17
	s_cbranch_execz .LBB213_1
; %bb.3:                                ;   in Loop: Header=BB213_2 Depth=1
	ds_load_b32 v18, v9 offset:1028
	s_wait_dscnt 0x0
	v_sub_nc_u32_e32 v18, v8, v18
	s_branch .LBB213_1
.LBB213_4:
	v_lshlrev_b32_e32 v0, 2, v0
	s_add_nc_u64 s[0:1], s[0:1], s[4:5]
	s_clause 0x7
	global_store_b32 v0, v1, s[0:1]
	global_store_b32 v0, v2, s[0:1] offset:1024
	global_store_b32 v0, v3, s[0:1] offset:2048
	;; [unrolled: 1-line block ×7, first 2 shown]
	s_endpgm
	.section	.rodata,"a",@progbits
	.p2align	6, 0x0
	.amdhsa_kernel _Z6kernelI27subtract_right_partial_tileLj256ELj8ELb1EJPiS1_S1_jEEvDpT3_
		.amdhsa_group_segment_fixed_size 2048
		.amdhsa_private_segment_fixed_size 0
		.amdhsa_kernarg_size 28
		.amdhsa_user_sgpr_count 2
		.amdhsa_user_sgpr_dispatch_ptr 0
		.amdhsa_user_sgpr_queue_ptr 0
		.amdhsa_user_sgpr_kernarg_segment_ptr 1
		.amdhsa_user_sgpr_dispatch_id 0
		.amdhsa_user_sgpr_private_segment_size 0
		.amdhsa_wavefront_size32 1
		.amdhsa_uses_dynamic_stack 0
		.amdhsa_enable_private_segment 0
		.amdhsa_system_sgpr_workgroup_id_x 1
		.amdhsa_system_sgpr_workgroup_id_y 0
		.amdhsa_system_sgpr_workgroup_id_z 0
		.amdhsa_system_sgpr_workgroup_info 0
		.amdhsa_system_vgpr_workitem_id 0
		.amdhsa_next_free_vgpr 26
		.amdhsa_next_free_sgpr 12
		.amdhsa_reserve_vcc 1
		.amdhsa_float_round_mode_32 0
		.amdhsa_float_round_mode_16_64 0
		.amdhsa_float_denorm_mode_32 3
		.amdhsa_float_denorm_mode_16_64 3
		.amdhsa_fp16_overflow 0
		.amdhsa_workgroup_processor_mode 1
		.amdhsa_memory_ordered 1
		.amdhsa_forward_progress 1
		.amdhsa_inst_pref_size 6
		.amdhsa_round_robin_scheduling 0
		.amdhsa_exception_fp_ieee_invalid_op 0
		.amdhsa_exception_fp_denorm_src 0
		.amdhsa_exception_fp_ieee_div_zero 0
		.amdhsa_exception_fp_ieee_overflow 0
		.amdhsa_exception_fp_ieee_underflow 0
		.amdhsa_exception_fp_ieee_inexact 0
		.amdhsa_exception_int_div_zero 0
	.end_amdhsa_kernel
	.section	.text._Z6kernelI27subtract_right_partial_tileLj256ELj8ELb1EJPiS1_S1_jEEvDpT3_,"axG",@progbits,_Z6kernelI27subtract_right_partial_tileLj256ELj8ELb1EJPiS1_S1_jEEvDpT3_,comdat
.Lfunc_end213:
	.size	_Z6kernelI27subtract_right_partial_tileLj256ELj8ELb1EJPiS1_S1_jEEvDpT3_, .Lfunc_end213-_Z6kernelI27subtract_right_partial_tileLj256ELj8ELb1EJPiS1_S1_jEEvDpT3_
                                        ; -- End function
	.set _Z6kernelI27subtract_right_partial_tileLj256ELj8ELb1EJPiS1_S1_jEEvDpT3_.num_vgpr, 26
	.set _Z6kernelI27subtract_right_partial_tileLj256ELj8ELb1EJPiS1_S1_jEEvDpT3_.num_agpr, 0
	.set _Z6kernelI27subtract_right_partial_tileLj256ELj8ELb1EJPiS1_S1_jEEvDpT3_.numbered_sgpr, 12
	.set _Z6kernelI27subtract_right_partial_tileLj256ELj8ELb1EJPiS1_S1_jEEvDpT3_.num_named_barrier, 0
	.set _Z6kernelI27subtract_right_partial_tileLj256ELj8ELb1EJPiS1_S1_jEEvDpT3_.private_seg_size, 0
	.set _Z6kernelI27subtract_right_partial_tileLj256ELj8ELb1EJPiS1_S1_jEEvDpT3_.uses_vcc, 1
	.set _Z6kernelI27subtract_right_partial_tileLj256ELj8ELb1EJPiS1_S1_jEEvDpT3_.uses_flat_scratch, 0
	.set _Z6kernelI27subtract_right_partial_tileLj256ELj8ELb1EJPiS1_S1_jEEvDpT3_.has_dyn_sized_stack, 0
	.set _Z6kernelI27subtract_right_partial_tileLj256ELj8ELb1EJPiS1_S1_jEEvDpT3_.has_recursion, 0
	.set _Z6kernelI27subtract_right_partial_tileLj256ELj8ELb1EJPiS1_S1_jEEvDpT3_.has_indirect_call, 0
	.section	.AMDGPU.csdata,"",@progbits
; Kernel info:
; codeLenInByte = 736
; TotalNumSgprs: 14
; NumVgprs: 26
; ScratchSize: 0
; MemoryBound: 0
; FloatMode: 240
; IeeeMode: 1
; LDSByteSize: 2048 bytes/workgroup (compile time only)
; SGPRBlocks: 0
; VGPRBlocks: 3
; NumSGPRsForWavesPerEU: 14
; NumVGPRsForWavesPerEU: 26
; Occupancy: 16
; WaveLimiterHint : 1
; COMPUTE_PGM_RSRC2:SCRATCH_EN: 0
; COMPUTE_PGM_RSRC2:USER_SGPR: 2
; COMPUTE_PGM_RSRC2:TRAP_HANDLER: 0
; COMPUTE_PGM_RSRC2:TGID_X_EN: 1
; COMPUTE_PGM_RSRC2:TGID_Y_EN: 0
; COMPUTE_PGM_RSRC2:TGID_Z_EN: 0
; COMPUTE_PGM_RSRC2:TIDIG_COMP_CNT: 0
	.section	.text._Z6kernelI27subtract_right_partial_tileLj256ELj16ELb1EJPiS1_S1_jEEvDpT3_,"axG",@progbits,_Z6kernelI27subtract_right_partial_tileLj256ELj16ELb1EJPiS1_S1_jEEvDpT3_,comdat
	.protected	_Z6kernelI27subtract_right_partial_tileLj256ELj16ELb1EJPiS1_S1_jEEvDpT3_ ; -- Begin function _Z6kernelI27subtract_right_partial_tileLj256ELj16ELb1EJPiS1_S1_jEEvDpT3_
	.globl	_Z6kernelI27subtract_right_partial_tileLj256ELj16ELb1EJPiS1_S1_jEEvDpT3_
	.p2align	8
	.type	_Z6kernelI27subtract_right_partial_tileLj256ELj16ELb1EJPiS1_S1_jEEvDpT3_,@function
_Z6kernelI27subtract_right_partial_tileLj256ELj16ELb1EJPiS1_S1_jEEvDpT3_: ; @_Z6kernelI27subtract_right_partial_tileLj256ELj16ELb1EJPiS1_S1_jEEvDpT3_
; %bb.0:
	s_load_b128 s[4:7], s[0:1], 0x0
	s_lshl_b32 s10, ttmp9, 12
	s_mov_b32 s11, 0
	v_lshlrev_b32_e32 v17, 2, v0
	s_lshl_b64 s[8:9], s[10:11], 2
	s_load_b96 s[0:2], s[0:1], 0x10
	s_mov_b32 s10, ttmp9
	v_lshlrev_b32_e32 v33, 4, v0
	s_delay_alu instid0(VALU_DEP_1)
	v_or_b32_e32 v19, 2, v33
	v_or_b32_e32 v20, 3, v33
	;; [unrolled: 1-line block ×8, first 2 shown]
	s_wait_kmcnt 0x0
	s_add_nc_u64 s[4:5], s[4:5], s[8:9]
	v_or_b32_e32 v27, 10, v33
	s_clause 0xf
	global_load_b32 v16, v17, s[4:5]
	global_load_b32 v15, v17, s[4:5] offset:1024
	global_load_b32 v14, v17, s[4:5] offset:2048
	;; [unrolled: 1-line block ×15, first 2 shown]
	v_or_b32_e32 v28, 11, v33
	v_or_b32_e32 v29, 12, v33
	s_cvt_f32_u32 s3, s2
	s_sub_co_i32 s4, 0, s2
	v_or_b32_e32 v30, 13, v33
	v_or_b32_e32 v31, 14, v33
	v_rcp_iflag_f32_e32 v18, s3
	v_or_b32_e32 v32, 15, v33
	s_delay_alu instid0(TRANS32_DEP_1) | instskip(SKIP_4) | instid1(SALU_CYCLE_2)
	v_readfirstlane_b32 s3, v18
	v_or_b32_e32 v18, 1, v33
	v_add_nc_u32_e32 v33, 16, v33
	s_mul_f32 s3, s3, 0x4f7ffffe
	s_wait_alu 0xfffe
	s_cvt_u32_f32 s3, s3
	s_wait_alu 0xfffe
	s_delay_alu instid0(SALU_CYCLE_2) | instskip(NEXT) | instid1(SALU_CYCLE_1)
	s_mul_i32 s4, s4, s3
	s_mul_hi_u32 s4, s3, s4
	s_delay_alu instid0(SALU_CYCLE_1)
	s_add_co_i32 s3, s3, s4
	s_lshl_b64 s[4:5], s[10:11], 2
	s_wait_alu 0xfffe
	s_lshr_b32 s10, s3, 20
	s_add_nc_u64 s[4:5], s[6:7], s[4:5]
	s_mul_i32 s6, s10, s2
	s_load_b32 s3, s[4:5], 0x0
	s_sub_co_i32 s4, 0x1000, s6
	s_add_co_i32 s5, s10, 1
	s_sub_co_i32 s6, s4, s2
	s_cmp_ge_u32 s4, s2
	s_cselect_b32 s5, s5, s10
	s_cselect_b32 s4, s6, s4
	s_add_co_i32 s6, s5, 1
	s_cmp_ge_u32 s4, s2
	s_cselect_b32 s4, s6, s5
	s_delay_alu instid0(SALU_CYCLE_1)
	s_add_co_i32 s4, s4, 1
	s_branch .LBB214_2
.LBB214_1:                              ;   in Loop: Header=BB214_2 Depth=1
	s_or_b32 exec_lo, exec_lo, s5
	v_cmp_gt_u32_e32 vcc_lo, s3, v18
	s_add_co_i32 s2, s2, -1
	s_wait_loadcnt 0x0
	s_barrier_signal -1
	s_barrier_wait -1
	s_wait_alu 0xfffd
	v_cndmask_b32_e32 v35, 0, v15, vcc_lo
	v_cmp_gt_u32_e32 vcc_lo, s3, v19
	global_inv scope:SCOPE_SE
	s_wait_alu 0xfffd
	v_cndmask_b32_e32 v36, 0, v14, vcc_lo
	v_cmp_gt_u32_e32 vcc_lo, s3, v20
	v_sub_nc_u32_e32 v35, v16, v35
	s_delay_alu instid0(VALU_DEP_3)
	v_sub_nc_u32_e32 v36, v15, v36
	s_wait_alu 0xfffd
	v_cndmask_b32_e32 v37, 0, v13, vcc_lo
	v_cmp_gt_u32_e32 vcc_lo, s3, v21
	v_add_nc_u32_e32 v16, v35, v16
	s_wait_alu 0xfffd
	v_dual_cndmask_b32 v38, 0, v12 :: v_dual_add_nc_u32 v15, v36, v15
	v_cmp_gt_u32_e32 vcc_lo, s3, v22
	v_sub_nc_u32_e32 v37, v14, v37
	s_delay_alu instid0(VALU_DEP_3)
	v_sub_nc_u32_e32 v38, v13, v38
	s_wait_alu 0xfffd
	v_cndmask_b32_e32 v39, 0, v11, vcc_lo
	v_cmp_gt_u32_e32 vcc_lo, s3, v23
	v_add_nc_u32_e32 v14, v37, v14
	s_wait_alu 0xfffd
	v_dual_cndmask_b32 v40, 0, v10 :: v_dual_add_nc_u32 v13, v38, v13
	;; [unrolled: 10-line block ×6, first 2 shown]
	v_cmp_gt_u32_e32 vcc_lo, s3, v32
	v_sub_nc_u32_e32 v47, v4, v47
	s_add_co_i32 s3, s4, s3
	s_delay_alu instid0(VALU_DEP_3) | instskip(SKIP_1) | instid1(VALU_DEP_2)
	v_sub_nc_u32_e32 v48, v3, v48
	s_wait_alu 0xfffd
	v_dual_cndmask_b32 v49, 0, v1 :: v_dual_add_nc_u32 v4, v47, v4
	v_add_nc_u32_e32 v1, v34, v1
	s_wait_alu 0xfffe
	s_and_b32 s3, s3, 0xfff
	v_add_nc_u32_e32 v3, v48, v3
	v_sub_nc_u32_e32 v49, v2, v49
	s_cmp_lg_u32 s2, 0
	s_delay_alu instid0(VALU_DEP_1)
	v_add_nc_u32_e32 v2, v49, v2
	s_cbranch_scc0 .LBB214_4
.LBB214_2:                              ; =>This Inner Loop Header: Depth=1
	s_wait_loadcnt 0x0
	v_mov_b32_e32 v34, v1
	s_mov_b32 s5, exec_lo
	ds_store_b32 v17, v16 offset:1024
	s_wait_dscnt 0x0
	s_barrier_signal -1
	s_barrier_wait -1
	global_inv scope:SCOPE_SE
	s_wait_kmcnt 0x0
	s_wait_alu 0xfffe
	v_cmpx_gt_u32_e64 s3, v33
	s_cbranch_execz .LBB214_1
; %bb.3:                                ;   in Loop: Header=BB214_2 Depth=1
	ds_load_b32 v34, v17 offset:1028
	s_wait_dscnt 0x0
	v_sub_nc_u32_e32 v34, v1, v34
	s_branch .LBB214_1
.LBB214_4:
	v_lshlrev_b32_e32 v0, 2, v0
	s_add_nc_u64 s[0:1], s[0:1], s[8:9]
	s_clause 0xf
	global_store_b32 v0, v16, s[0:1]
	global_store_b32 v0, v15, s[0:1] offset:1024
	global_store_b32 v0, v14, s[0:1] offset:2048
	;; [unrolled: 1-line block ×15, first 2 shown]
	s_endpgm
	.section	.rodata,"a",@progbits
	.p2align	6, 0x0
	.amdhsa_kernel _Z6kernelI27subtract_right_partial_tileLj256ELj16ELb1EJPiS1_S1_jEEvDpT3_
		.amdhsa_group_segment_fixed_size 2048
		.amdhsa_private_segment_fixed_size 0
		.amdhsa_kernarg_size 28
		.amdhsa_user_sgpr_count 2
		.amdhsa_user_sgpr_dispatch_ptr 0
		.amdhsa_user_sgpr_queue_ptr 0
		.amdhsa_user_sgpr_kernarg_segment_ptr 1
		.amdhsa_user_sgpr_dispatch_id 0
		.amdhsa_user_sgpr_private_segment_size 0
		.amdhsa_wavefront_size32 1
		.amdhsa_uses_dynamic_stack 0
		.amdhsa_enable_private_segment 0
		.amdhsa_system_sgpr_workgroup_id_x 1
		.amdhsa_system_sgpr_workgroup_id_y 0
		.amdhsa_system_sgpr_workgroup_id_z 0
		.amdhsa_system_sgpr_workgroup_info 0
		.amdhsa_system_vgpr_workitem_id 0
		.amdhsa_next_free_vgpr 50
		.amdhsa_next_free_sgpr 12
		.amdhsa_reserve_vcc 1
		.amdhsa_float_round_mode_32 0
		.amdhsa_float_round_mode_16_64 0
		.amdhsa_float_denorm_mode_32 3
		.amdhsa_float_denorm_mode_16_64 3
		.amdhsa_fp16_overflow 0
		.amdhsa_workgroup_processor_mode 1
		.amdhsa_memory_ordered 1
		.amdhsa_forward_progress 1
		.amdhsa_inst_pref_size 9
		.amdhsa_round_robin_scheduling 0
		.amdhsa_exception_fp_ieee_invalid_op 0
		.amdhsa_exception_fp_denorm_src 0
		.amdhsa_exception_fp_ieee_div_zero 0
		.amdhsa_exception_fp_ieee_overflow 0
		.amdhsa_exception_fp_ieee_underflow 0
		.amdhsa_exception_fp_ieee_inexact 0
		.amdhsa_exception_int_div_zero 0
	.end_amdhsa_kernel
	.section	.text._Z6kernelI27subtract_right_partial_tileLj256ELj16ELb1EJPiS1_S1_jEEvDpT3_,"axG",@progbits,_Z6kernelI27subtract_right_partial_tileLj256ELj16ELb1EJPiS1_S1_jEEvDpT3_,comdat
.Lfunc_end214:
	.size	_Z6kernelI27subtract_right_partial_tileLj256ELj16ELb1EJPiS1_S1_jEEvDpT3_, .Lfunc_end214-_Z6kernelI27subtract_right_partial_tileLj256ELj16ELb1EJPiS1_S1_jEEvDpT3_
                                        ; -- End function
	.set _Z6kernelI27subtract_right_partial_tileLj256ELj16ELb1EJPiS1_S1_jEEvDpT3_.num_vgpr, 50
	.set _Z6kernelI27subtract_right_partial_tileLj256ELj16ELb1EJPiS1_S1_jEEvDpT3_.num_agpr, 0
	.set _Z6kernelI27subtract_right_partial_tileLj256ELj16ELb1EJPiS1_S1_jEEvDpT3_.numbered_sgpr, 12
	.set _Z6kernelI27subtract_right_partial_tileLj256ELj16ELb1EJPiS1_S1_jEEvDpT3_.num_named_barrier, 0
	.set _Z6kernelI27subtract_right_partial_tileLj256ELj16ELb1EJPiS1_S1_jEEvDpT3_.private_seg_size, 0
	.set _Z6kernelI27subtract_right_partial_tileLj256ELj16ELb1EJPiS1_S1_jEEvDpT3_.uses_vcc, 1
	.set _Z6kernelI27subtract_right_partial_tileLj256ELj16ELb1EJPiS1_S1_jEEvDpT3_.uses_flat_scratch, 0
	.set _Z6kernelI27subtract_right_partial_tileLj256ELj16ELb1EJPiS1_S1_jEEvDpT3_.has_dyn_sized_stack, 0
	.set _Z6kernelI27subtract_right_partial_tileLj256ELj16ELb1EJPiS1_S1_jEEvDpT3_.has_recursion, 0
	.set _Z6kernelI27subtract_right_partial_tileLj256ELj16ELb1EJPiS1_S1_jEEvDpT3_.has_indirect_call, 0
	.section	.AMDGPU.csdata,"",@progbits
; Kernel info:
; codeLenInByte = 1136
; TotalNumSgprs: 14
; NumVgprs: 50
; ScratchSize: 0
; MemoryBound: 0
; FloatMode: 240
; IeeeMode: 1
; LDSByteSize: 2048 bytes/workgroup (compile time only)
; SGPRBlocks: 0
; VGPRBlocks: 6
; NumSGPRsForWavesPerEU: 14
; NumVGPRsForWavesPerEU: 50
; Occupancy: 16
; WaveLimiterHint : 1
; COMPUTE_PGM_RSRC2:SCRATCH_EN: 0
; COMPUTE_PGM_RSRC2:USER_SGPR: 2
; COMPUTE_PGM_RSRC2:TRAP_HANDLER: 0
; COMPUTE_PGM_RSRC2:TGID_X_EN: 1
; COMPUTE_PGM_RSRC2:TGID_Y_EN: 0
; COMPUTE_PGM_RSRC2:TGID_Z_EN: 0
; COMPUTE_PGM_RSRC2:TIDIG_COMP_CNT: 0
	.section	.text._Z6kernelI27subtract_right_partial_tileLj256ELj32ELb1EJPiS1_S1_jEEvDpT3_,"axG",@progbits,_Z6kernelI27subtract_right_partial_tileLj256ELj32ELb1EJPiS1_S1_jEEvDpT3_,comdat
	.protected	_Z6kernelI27subtract_right_partial_tileLj256ELj32ELb1EJPiS1_S1_jEEvDpT3_ ; -- Begin function _Z6kernelI27subtract_right_partial_tileLj256ELj32ELb1EJPiS1_S1_jEEvDpT3_
	.globl	_Z6kernelI27subtract_right_partial_tileLj256ELj32ELb1EJPiS1_S1_jEEvDpT3_
	.p2align	8
	.type	_Z6kernelI27subtract_right_partial_tileLj256ELj32ELb1EJPiS1_S1_jEEvDpT3_,@function
_Z6kernelI27subtract_right_partial_tileLj256ELj32ELb1EJPiS1_S1_jEEvDpT3_: ; @_Z6kernelI27subtract_right_partial_tileLj256ELj32ELb1EJPiS1_S1_jEEvDpT3_
; %bb.0:
	s_load_b128 s[4:7], s[0:1], 0x0
	s_lshl_b32 s10, ttmp9, 13
	s_mov_b32 s11, 0
	v_lshlrev_b32_e32 v33, 2, v0
	s_lshl_b64 s[8:9], s[10:11], 2
	s_load_b96 s[0:2], s[0:1], 0x10
	s_mov_b32 s10, ttmp9
	v_lshlrev_b32_e32 v65, 5, v0
	s_delay_alu instid0(VALU_DEP_1)
	v_or_b32_e32 v35, 2, v65
	v_or_b32_e32 v36, 3, v65
	;; [unrolled: 1-line block ×8, first 2 shown]
	s_wait_kmcnt 0x0
	s_add_nc_u64 s[4:5], s[4:5], s[8:9]
	v_or_b32_e32 v43, 10, v65
	s_clause 0x1f
	global_load_b32 v32, v33, s[4:5]
	global_load_b32 v31, v33, s[4:5] offset:1024
	global_load_b32 v30, v33, s[4:5] offset:2048
	;; [unrolled: 1-line block ×31, first 2 shown]
	v_or_b32_e32 v44, 11, v65
	v_or_b32_e32 v45, 12, v65
	s_cvt_f32_u32 s3, s2
	s_sub_co_i32 s4, 0, s2
	v_or_b32_e32 v46, 13, v65
	v_or_b32_e32 v47, 14, v65
	v_rcp_iflag_f32_e32 v34, s3
	v_or_b32_e32 v48, 15, v65
	v_or_b32_e32 v49, 16, v65
	;; [unrolled: 1-line block ×9, first 2 shown]
	v_readfirstlane_b32 s3, v34
	v_or_b32_e32 v34, 1, v65
	v_or_b32_e32 v57, 24, v65
	;; [unrolled: 1-line block ×4, first 2 shown]
	s_mul_f32 s3, s3, 0x4f7ffffe
	v_or_b32_e32 v60, 27, v65
	v_or_b32_e32 v61, 28, v65
	;; [unrolled: 1-line block ×3, first 2 shown]
	s_wait_alu 0xfffe
	s_cvt_u32_f32 s3, s3
	v_or_b32_e32 v63, 30, v65
	v_or_b32_e32 v64, 31, v65
	v_add_nc_u32_e32 v65, 32, v65
	s_wait_alu 0xfffe
	s_mul_i32 s4, s4, s3
	s_delay_alu instid0(SALU_CYCLE_1) | instskip(NEXT) | instid1(SALU_CYCLE_1)
	s_mul_hi_u32 s4, s3, s4
	s_add_co_i32 s3, s3, s4
	s_lshl_b64 s[4:5], s[10:11], 2
	s_wait_alu 0xfffe
	s_lshr_b32 s10, s3, 19
	s_add_nc_u64 s[4:5], s[6:7], s[4:5]
	s_mul_i32 s6, s10, s2
	s_load_b32 s3, s[4:5], 0x0
	s_sub_co_i32 s4, 0x2000, s6
	s_add_co_i32 s5, s10, 1
	s_sub_co_i32 s6, s4, s2
	s_cmp_ge_u32 s4, s2
	s_cselect_b32 s5, s5, s10
	s_cselect_b32 s4, s6, s4
	s_add_co_i32 s6, s5, 1
	s_cmp_ge_u32 s4, s2
	s_cselect_b32 s4, s6, s5
	s_delay_alu instid0(SALU_CYCLE_1)
	s_add_co_i32 s4, s4, 1
	s_branch .LBB215_2
.LBB215_1:                              ;   in Loop: Header=BB215_2 Depth=1
	s_or_b32 exec_lo, exec_lo, s5
	v_cmp_gt_u32_e32 vcc_lo, s3, v34
	s_add_co_i32 s2, s2, -1
	s_wait_loadcnt 0x0
	s_barrier_signal -1
	s_barrier_wait -1
	s_wait_alu 0xfffd
	v_cndmask_b32_e32 v67, 0, v31, vcc_lo
	v_cmp_gt_u32_e32 vcc_lo, s3, v35
	global_inv scope:SCOPE_SE
	s_wait_alu 0xfffd
	v_cndmask_b32_e32 v68, 0, v30, vcc_lo
	v_cmp_gt_u32_e32 vcc_lo, s3, v36
	v_sub_nc_u32_e32 v67, v32, v67
	s_delay_alu instid0(VALU_DEP_3)
	v_sub_nc_u32_e32 v68, v31, v68
	s_wait_alu 0xfffd
	v_cndmask_b32_e32 v69, 0, v29, vcc_lo
	v_cmp_gt_u32_e32 vcc_lo, s3, v37
	s_wait_alu 0xfffd
	v_cndmask_b32_e32 v70, 0, v28, vcc_lo
	v_cmp_gt_u32_e32 vcc_lo, s3, v38
	v_sub_nc_u32_e32 v69, v30, v69
	s_delay_alu instid0(VALU_DEP_3)
	v_sub_nc_u32_e32 v70, v29, v70
	s_wait_alu 0xfffd
	v_cndmask_b32_e32 v71, 0, v27, vcc_lo
	v_cmp_gt_u32_e32 vcc_lo, s3, v39
	s_wait_alu 0xfffd
	v_dual_cndmask_b32 v72, 0, v26 :: v_dual_add_nc_u32 v29, v70, v29
	v_cmp_gt_u32_e32 vcc_lo, s3, v40
	v_sub_nc_u32_e32 v71, v28, v71
	s_delay_alu instid0(VALU_DEP_3)
	v_sub_nc_u32_e32 v72, v27, v72
	s_wait_alu 0xfffd
	v_cndmask_b32_e32 v73, 0, v25, vcc_lo
	v_cmp_gt_u32_e32 vcc_lo, s3, v41
	v_add_nc_u32_e32 v28, v71, v28
	s_wait_alu 0xfffd
	v_dual_cndmask_b32 v74, 0, v24 :: v_dual_add_nc_u32 v27, v72, v27
	v_cmp_gt_u32_e32 vcc_lo, s3, v42
	v_sub_nc_u32_e32 v73, v26, v73
	s_delay_alu instid0(VALU_DEP_3)
	v_sub_nc_u32_e32 v74, v25, v74
	s_wait_alu 0xfffd
	v_cndmask_b32_e32 v75, 0, v23, vcc_lo
	v_cmp_gt_u32_e32 vcc_lo, s3, v43
	v_add_nc_u32_e32 v26, v73, v26
	;; [unrolled: 10-line block ×11, first 2 shown]
	s_wait_alu 0xfffd
	v_dual_cndmask_b32 v94, 0, v4 :: v_dual_add_nc_u32 v7, v92, v7
	v_cmp_gt_u32_e32 vcc_lo, s3, v62
	v_add_nc_u32_e32 v32, v67, v32
	v_sub_nc_u32_e32 v93, v6, v93
	s_delay_alu instid0(VALU_DEP_4)
	v_sub_nc_u32_e32 v94, v5, v94
	s_wait_alu 0xfffd
	v_cndmask_b32_e32 v67, 0, v3, vcc_lo
	v_cmp_gt_u32_e32 vcc_lo, s3, v63
	v_add_nc_u32_e32 v31, v68, v31
	v_add_nc_u32_e32 v6, v93, v6
	;; [unrolled: 1-line block ×3, first 2 shown]
	v_sub_nc_u32_e32 v67, v4, v67
	s_wait_alu 0xfffd
	v_cndmask_b32_e32 v68, 0, v2, vcc_lo
	v_cmp_gt_u32_e32 vcc_lo, s3, v64
	v_add_nc_u32_e32 v30, v69, v30
	s_add_co_i32 s3, s4, s3
	v_add_nc_u32_e32 v4, v67, v4
	v_sub_nc_u32_e32 v68, v3, v68
	s_wait_alu 0xfffd
	v_cndmask_b32_e32 v69, 0, v1, vcc_lo
	v_add_nc_u32_e32 v1, v66, v1
	s_wait_alu 0xfffe
	s_and_b32 s3, s3, 0x1fff
	s_cmp_lg_u32 s2, 0
	v_add_nc_u32_e32 v3, v68, v3
	v_sub_nc_u32_e32 v69, v2, v69
	s_delay_alu instid0(VALU_DEP_1)
	v_add_nc_u32_e32 v2, v69, v2
	s_cbranch_scc0 .LBB215_4
.LBB215_2:                              ; =>This Inner Loop Header: Depth=1
	s_wait_loadcnt 0x0
	v_mov_b32_e32 v66, v1
	s_mov_b32 s5, exec_lo
	ds_store_b32 v33, v32 offset:1024
	s_wait_dscnt 0x0
	s_barrier_signal -1
	s_barrier_wait -1
	global_inv scope:SCOPE_SE
	s_wait_kmcnt 0x0
	s_wait_alu 0xfffe
	v_cmpx_gt_u32_e64 s3, v65
	s_cbranch_execz .LBB215_1
; %bb.3:                                ;   in Loop: Header=BB215_2 Depth=1
	ds_load_b32 v66, v33 offset:1028
	s_wait_dscnt 0x0
	v_sub_nc_u32_e32 v66, v1, v66
	s_branch .LBB215_1
.LBB215_4:
	v_lshlrev_b32_e32 v0, 2, v0
	s_add_nc_u64 s[0:1], s[0:1], s[8:9]
	s_clause 0x1f
	global_store_b32 v0, v32, s[0:1]
	global_store_b32 v0, v31, s[0:1] offset:1024
	global_store_b32 v0, v30, s[0:1] offset:2048
	;; [unrolled: 1-line block ×31, first 2 shown]
	s_endpgm
	.section	.rodata,"a",@progbits
	.p2align	6, 0x0
	.amdhsa_kernel _Z6kernelI27subtract_right_partial_tileLj256ELj32ELb1EJPiS1_S1_jEEvDpT3_
		.amdhsa_group_segment_fixed_size 2048
		.amdhsa_private_segment_fixed_size 0
		.amdhsa_kernarg_size 28
		.amdhsa_user_sgpr_count 2
		.amdhsa_user_sgpr_dispatch_ptr 0
		.amdhsa_user_sgpr_queue_ptr 0
		.amdhsa_user_sgpr_kernarg_segment_ptr 1
		.amdhsa_user_sgpr_dispatch_id 0
		.amdhsa_user_sgpr_private_segment_size 0
		.amdhsa_wavefront_size32 1
		.amdhsa_uses_dynamic_stack 0
		.amdhsa_enable_private_segment 0
		.amdhsa_system_sgpr_workgroup_id_x 1
		.amdhsa_system_sgpr_workgroup_id_y 0
		.amdhsa_system_sgpr_workgroup_id_z 0
		.amdhsa_system_sgpr_workgroup_info 0
		.amdhsa_system_vgpr_workitem_id 0
		.amdhsa_next_free_vgpr 95
		.amdhsa_next_free_sgpr 12
		.amdhsa_reserve_vcc 1
		.amdhsa_float_round_mode_32 0
		.amdhsa_float_round_mode_16_64 0
		.amdhsa_float_denorm_mode_32 3
		.amdhsa_float_denorm_mode_16_64 3
		.amdhsa_fp16_overflow 0
		.amdhsa_workgroup_processor_mode 1
		.amdhsa_memory_ordered 1
		.amdhsa_forward_progress 1
		.amdhsa_inst_pref_size 16
		.amdhsa_round_robin_scheduling 0
		.amdhsa_exception_fp_ieee_invalid_op 0
		.amdhsa_exception_fp_denorm_src 0
		.amdhsa_exception_fp_ieee_div_zero 0
		.amdhsa_exception_fp_ieee_overflow 0
		.amdhsa_exception_fp_ieee_underflow 0
		.amdhsa_exception_fp_ieee_inexact 0
		.amdhsa_exception_int_div_zero 0
	.end_amdhsa_kernel
	.section	.text._Z6kernelI27subtract_right_partial_tileLj256ELj32ELb1EJPiS1_S1_jEEvDpT3_,"axG",@progbits,_Z6kernelI27subtract_right_partial_tileLj256ELj32ELb1EJPiS1_S1_jEEvDpT3_,comdat
.Lfunc_end215:
	.size	_Z6kernelI27subtract_right_partial_tileLj256ELj32ELb1EJPiS1_S1_jEEvDpT3_, .Lfunc_end215-_Z6kernelI27subtract_right_partial_tileLj256ELj32ELb1EJPiS1_S1_jEEvDpT3_
                                        ; -- End function
	.set _Z6kernelI27subtract_right_partial_tileLj256ELj32ELb1EJPiS1_S1_jEEvDpT3_.num_vgpr, 95
	.set _Z6kernelI27subtract_right_partial_tileLj256ELj32ELb1EJPiS1_S1_jEEvDpT3_.num_agpr, 0
	.set _Z6kernelI27subtract_right_partial_tileLj256ELj32ELb1EJPiS1_S1_jEEvDpT3_.numbered_sgpr, 12
	.set _Z6kernelI27subtract_right_partial_tileLj256ELj32ELb1EJPiS1_S1_jEEvDpT3_.num_named_barrier, 0
	.set _Z6kernelI27subtract_right_partial_tileLj256ELj32ELb1EJPiS1_S1_jEEvDpT3_.private_seg_size, 0
	.set _Z6kernelI27subtract_right_partial_tileLj256ELj32ELb1EJPiS1_S1_jEEvDpT3_.uses_vcc, 1
	.set _Z6kernelI27subtract_right_partial_tileLj256ELj32ELb1EJPiS1_S1_jEEvDpT3_.uses_flat_scratch, 0
	.set _Z6kernelI27subtract_right_partial_tileLj256ELj32ELb1EJPiS1_S1_jEEvDpT3_.has_dyn_sized_stack, 0
	.set _Z6kernelI27subtract_right_partial_tileLj256ELj32ELb1EJPiS1_S1_jEEvDpT3_.has_recursion, 0
	.set _Z6kernelI27subtract_right_partial_tileLj256ELj32ELb1EJPiS1_S1_jEEvDpT3_.has_indirect_call, 0
	.section	.AMDGPU.csdata,"",@progbits
; Kernel info:
; codeLenInByte = 1924
; TotalNumSgprs: 14
; NumVgprs: 95
; ScratchSize: 0
; MemoryBound: 0
; FloatMode: 240
; IeeeMode: 1
; LDSByteSize: 2048 bytes/workgroup (compile time only)
; SGPRBlocks: 0
; VGPRBlocks: 11
; NumSGPRsForWavesPerEU: 14
; NumVGPRsForWavesPerEU: 95
; Occupancy: 16
; WaveLimiterHint : 1
; COMPUTE_PGM_RSRC2:SCRATCH_EN: 0
; COMPUTE_PGM_RSRC2:USER_SGPR: 2
; COMPUTE_PGM_RSRC2:TRAP_HANDLER: 0
; COMPUTE_PGM_RSRC2:TGID_X_EN: 1
; COMPUTE_PGM_RSRC2:TGID_Y_EN: 0
; COMPUTE_PGM_RSRC2:TGID_Z_EN: 0
; COMPUTE_PGM_RSRC2:TIDIG_COMP_CNT: 0
	.section	.text._Z6kernelI27subtract_right_partial_tileLj256ELj1ELb1EJPfPiS1_jEEvDpT3_,"axG",@progbits,_Z6kernelI27subtract_right_partial_tileLj256ELj1ELb1EJPfPiS1_jEEvDpT3_,comdat
	.protected	_Z6kernelI27subtract_right_partial_tileLj256ELj1ELb1EJPfPiS1_jEEvDpT3_ ; -- Begin function _Z6kernelI27subtract_right_partial_tileLj256ELj1ELb1EJPfPiS1_jEEvDpT3_
	.globl	_Z6kernelI27subtract_right_partial_tileLj256ELj1ELb1EJPfPiS1_jEEvDpT3_
	.p2align	8
	.type	_Z6kernelI27subtract_right_partial_tileLj256ELj1ELb1EJPfPiS1_jEEvDpT3_,@function
_Z6kernelI27subtract_right_partial_tileLj256ELj1ELb1EJPfPiS1_jEEvDpT3_: ; @_Z6kernelI27subtract_right_partial_tileLj256ELj1ELb1EJPfPiS1_jEEvDpT3_
; %bb.0:
	s_load_b128 s[8:11], s[0:1], 0x0
	s_lshl_b32 s6, ttmp9, 8
	s_mov_b32 s7, 0
	v_lshlrev_b32_e32 v2, 2, v0
	s_lshl_b64 s[4:5], s[6:7], 2
	s_load_b96 s[0:2], s[0:1], 0x10
	s_mov_b32 s6, ttmp9
	s_delay_alu instid0(SALU_CYCLE_1)
	s_lshl_b64 s[6:7], s[6:7], 2
	s_wait_kmcnt 0x0
	s_add_nc_u64 s[8:9], s[8:9], s[4:5]
	s_add_nc_u64 s[6:7], s[10:11], s[6:7]
	global_load_b32 v1, v2, s[8:9]
	s_cvt_f32_u32 s3, s2
	s_delay_alu instid0(SALU_CYCLE_3) | instskip(NEXT) | instid1(TRANS32_DEP_1)
	v_rcp_iflag_f32_e32 v3, s3
	v_readfirstlane_b32 s3, v3
	v_add_nc_u32_e32 v3, 1, v0
	s_mul_f32 s3, s3, 0x4f7ffffe
	s_wait_alu 0xfffe
	s_delay_alu instid0(SALU_CYCLE_2) | instskip(SKIP_2) | instid1(SALU_CYCLE_1)
	s_cvt_u32_f32 s8, s3
	s_sub_co_i32 s3, 0, s2
	s_wait_alu 0xfffe
	s_mul_i32 s3, s3, s8
	s_wait_alu 0xfffe
	s_mul_hi_u32 s9, s8, s3
	s_load_b32 s3, s[6:7], 0x0
	s_add_co_i32 s8, s8, s9
	s_delay_alu instid0(SALU_CYCLE_1) | instskip(NEXT) | instid1(SALU_CYCLE_1)
	s_lshr_b32 s6, s8, 24
	s_mul_i32 s7, s6, s2
	s_add_co_i32 s8, s6, 1
	s_sub_co_i32 s7, 0x100, s7
	s_delay_alu instid0(SALU_CYCLE_1)
	s_sub_co_i32 s9, s7, s2
	s_cmp_ge_u32 s7, s2
	s_cselect_b32 s6, s8, s6
	s_cselect_b32 s7, s9, s7
	s_add_co_i32 s8, s6, 1
	s_cmp_ge_u32 s7, s2
	s_cselect_b32 s6, s8, s6
	s_delay_alu instid0(SALU_CYCLE_1)
	s_add_co_i32 s6, s6, 1
	s_branch .LBB216_2
.LBB216_1:                              ;   in Loop: Header=BB216_2 Depth=1
	s_or_b32 exec_lo, exec_lo, s7
	s_add_co_i32 s3, s6, s3
	s_delay_alu instid0(VALU_DEP_1)
	v_add_f32_e32 v1, v1, v4
	s_add_co_i32 s2, s2, -1
	s_wait_alu 0xfffe
	s_and_b32 s3, s3, 0xff
	s_cmp_lg_u32 s2, 0
	s_wait_loadcnt 0x0
	s_barrier_signal -1
	s_barrier_wait -1
	global_inv scope:SCOPE_SE
	s_cbranch_scc0 .LBB216_4
.LBB216_2:                              ; =>This Inner Loop Header: Depth=1
	s_wait_loadcnt 0x0
	v_mov_b32_e32 v4, v1
	s_mov_b32 s7, exec_lo
	ds_store_b32 v2, v1 offset:1024
	s_wait_dscnt 0x0
	s_barrier_signal -1
	s_barrier_wait -1
	global_inv scope:SCOPE_SE
	s_wait_kmcnt 0x0
	s_wait_alu 0xfffe
	v_cmpx_gt_u32_e64 s3, v3
	s_cbranch_execz .LBB216_1
; %bb.3:                                ;   in Loop: Header=BB216_2 Depth=1
	ds_load_b32 v4, v2 offset:1028
	s_wait_dscnt 0x0
	v_sub_f32_e32 v4, v1, v4
	s_branch .LBB216_1
.LBB216_4:
	v_lshlrev_b32_e32 v0, 2, v0
	s_add_nc_u64 s[0:1], s[0:1], s[4:5]
	global_store_b32 v0, v1, s[0:1]
	s_endpgm
	.section	.rodata,"a",@progbits
	.p2align	6, 0x0
	.amdhsa_kernel _Z6kernelI27subtract_right_partial_tileLj256ELj1ELb1EJPfPiS1_jEEvDpT3_
		.amdhsa_group_segment_fixed_size 2048
		.amdhsa_private_segment_fixed_size 0
		.amdhsa_kernarg_size 28
		.amdhsa_user_sgpr_count 2
		.amdhsa_user_sgpr_dispatch_ptr 0
		.amdhsa_user_sgpr_queue_ptr 0
		.amdhsa_user_sgpr_kernarg_segment_ptr 1
		.amdhsa_user_sgpr_dispatch_id 0
		.amdhsa_user_sgpr_private_segment_size 0
		.amdhsa_wavefront_size32 1
		.amdhsa_uses_dynamic_stack 0
		.amdhsa_enable_private_segment 0
		.amdhsa_system_sgpr_workgroup_id_x 1
		.amdhsa_system_sgpr_workgroup_id_y 0
		.amdhsa_system_sgpr_workgroup_id_z 0
		.amdhsa_system_sgpr_workgroup_info 0
		.amdhsa_system_vgpr_workitem_id 0
		.amdhsa_next_free_vgpr 5
		.amdhsa_next_free_sgpr 12
		.amdhsa_reserve_vcc 0
		.amdhsa_float_round_mode_32 0
		.amdhsa_float_round_mode_16_64 0
		.amdhsa_float_denorm_mode_32 3
		.amdhsa_float_denorm_mode_16_64 3
		.amdhsa_fp16_overflow 0
		.amdhsa_workgroup_processor_mode 1
		.amdhsa_memory_ordered 1
		.amdhsa_forward_progress 1
		.amdhsa_inst_pref_size 3
		.amdhsa_round_robin_scheduling 0
		.amdhsa_exception_fp_ieee_invalid_op 0
		.amdhsa_exception_fp_denorm_src 0
		.amdhsa_exception_fp_ieee_div_zero 0
		.amdhsa_exception_fp_ieee_overflow 0
		.amdhsa_exception_fp_ieee_underflow 0
		.amdhsa_exception_fp_ieee_inexact 0
		.amdhsa_exception_int_div_zero 0
	.end_amdhsa_kernel
	.section	.text._Z6kernelI27subtract_right_partial_tileLj256ELj1ELb1EJPfPiS1_jEEvDpT3_,"axG",@progbits,_Z6kernelI27subtract_right_partial_tileLj256ELj1ELb1EJPfPiS1_jEEvDpT3_,comdat
.Lfunc_end216:
	.size	_Z6kernelI27subtract_right_partial_tileLj256ELj1ELb1EJPfPiS1_jEEvDpT3_, .Lfunc_end216-_Z6kernelI27subtract_right_partial_tileLj256ELj1ELb1EJPfPiS1_jEEvDpT3_
                                        ; -- End function
	.set _Z6kernelI27subtract_right_partial_tileLj256ELj1ELb1EJPfPiS1_jEEvDpT3_.num_vgpr, 5
	.set _Z6kernelI27subtract_right_partial_tileLj256ELj1ELb1EJPfPiS1_jEEvDpT3_.num_agpr, 0
	.set _Z6kernelI27subtract_right_partial_tileLj256ELj1ELb1EJPfPiS1_jEEvDpT3_.numbered_sgpr, 12
	.set _Z6kernelI27subtract_right_partial_tileLj256ELj1ELb1EJPfPiS1_jEEvDpT3_.num_named_barrier, 0
	.set _Z6kernelI27subtract_right_partial_tileLj256ELj1ELb1EJPfPiS1_jEEvDpT3_.private_seg_size, 0
	.set _Z6kernelI27subtract_right_partial_tileLj256ELj1ELb1EJPfPiS1_jEEvDpT3_.uses_vcc, 0
	.set _Z6kernelI27subtract_right_partial_tileLj256ELj1ELb1EJPfPiS1_jEEvDpT3_.uses_flat_scratch, 0
	.set _Z6kernelI27subtract_right_partial_tileLj256ELj1ELb1EJPfPiS1_jEEvDpT3_.has_dyn_sized_stack, 0
	.set _Z6kernelI27subtract_right_partial_tileLj256ELj1ELb1EJPfPiS1_jEEvDpT3_.has_recursion, 0
	.set _Z6kernelI27subtract_right_partial_tileLj256ELj1ELb1EJPfPiS1_jEEvDpT3_.has_indirect_call, 0
	.section	.AMDGPU.csdata,"",@progbits
; Kernel info:
; codeLenInByte = 380
; TotalNumSgprs: 12
; NumVgprs: 5
; ScratchSize: 0
; MemoryBound: 0
; FloatMode: 240
; IeeeMode: 1
; LDSByteSize: 2048 bytes/workgroup (compile time only)
; SGPRBlocks: 0
; VGPRBlocks: 0
; NumSGPRsForWavesPerEU: 12
; NumVGPRsForWavesPerEU: 5
; Occupancy: 16
; WaveLimiterHint : 0
; COMPUTE_PGM_RSRC2:SCRATCH_EN: 0
; COMPUTE_PGM_RSRC2:USER_SGPR: 2
; COMPUTE_PGM_RSRC2:TRAP_HANDLER: 0
; COMPUTE_PGM_RSRC2:TGID_X_EN: 1
; COMPUTE_PGM_RSRC2:TGID_Y_EN: 0
; COMPUTE_PGM_RSRC2:TGID_Z_EN: 0
; COMPUTE_PGM_RSRC2:TIDIG_COMP_CNT: 0
	.section	.text._Z6kernelI27subtract_right_partial_tileLj256ELj3ELb1EJPfPiS1_jEEvDpT3_,"axG",@progbits,_Z6kernelI27subtract_right_partial_tileLj256ELj3ELb1EJPfPiS1_jEEvDpT3_,comdat
	.protected	_Z6kernelI27subtract_right_partial_tileLj256ELj3ELb1EJPfPiS1_jEEvDpT3_ ; -- Begin function _Z6kernelI27subtract_right_partial_tileLj256ELj3ELb1EJPfPiS1_jEEvDpT3_
	.globl	_Z6kernelI27subtract_right_partial_tileLj256ELj3ELb1EJPfPiS1_jEEvDpT3_
	.p2align	8
	.type	_Z6kernelI27subtract_right_partial_tileLj256ELj3ELb1EJPfPiS1_jEEvDpT3_,@function
_Z6kernelI27subtract_right_partial_tileLj256ELj3ELb1EJPfPiS1_jEEvDpT3_: ; @_Z6kernelI27subtract_right_partial_tileLj256ELj3ELb1EJPfPiS1_jEEvDpT3_
; %bb.0:
	s_load_b128 s[8:11], s[0:1], 0x0
	s_mul_i32 s6, ttmp9, 0x300
	s_mov_b32 s7, 0
	v_lshlrev_b32_e32 v4, 2, v0
	s_lshl_b64 s[4:5], s[6:7], 2
	s_load_b96 s[0:2], s[0:1], 0x10
	v_mad_u32_u24 v6, v0, 3, 2
	v_mad_u32_u24 v7, v0, 3, 3
	s_wait_kmcnt 0x0
	s_add_nc_u64 s[8:9], s[8:9], s[4:5]
	s_clause 0x2
	global_load_b32 v1, v4, s[8:9]
	global_load_b32 v2, v4, s[8:9] offset:1024
	global_load_b32 v3, v4, s[8:9] offset:2048
	s_cvt_f32_u32 s3, s2
	s_sub_co_i32 s6, 0, s2
	s_delay_alu instid0(SALU_CYCLE_2) | instskip(NEXT) | instid1(TRANS32_DEP_1)
	v_rcp_iflag_f32_e32 v5, s3
	v_readfirstlane_b32 s3, v5
	v_mad_u32_u24 v5, v0, 3, 1
	s_mul_f32 s3, s3, 0x4f7ffffe
	s_wait_alu 0xfffe
	s_delay_alu instid0(SALU_CYCLE_2) | instskip(SKIP_1) | instid1(SALU_CYCLE_2)
	s_cvt_u32_f32 s3, s3
	s_wait_alu 0xfffe
	s_mul_i32 s8, s6, s3
	s_mov_b32 s6, ttmp9
	s_mul_hi_u32 s8, s3, s8
	s_lshl_b64 s[6:7], s[6:7], 2
	s_add_co_i32 s8, s3, s8
	s_add_nc_u64 s[6:7], s[10:11], s[6:7]
	s_load_b32 s3, s[6:7], 0x0
	s_mul_hi_u32 s6, s8, 0x300
	s_delay_alu instid0(SALU_CYCLE_1) | instskip(SKIP_2) | instid1(SALU_CYCLE_1)
	s_mul_i32 s7, s6, s2
	s_add_co_i32 s8, s6, 1
	s_sub_co_i32 s7, 0x300, s7
	s_sub_co_i32 s9, s7, s2
	s_cmp_ge_u32 s7, s2
	s_cselect_b32 s6, s8, s6
	s_cselect_b32 s7, s9, s7
	s_add_co_i32 s8, s6, 1
	s_cmp_ge_u32 s7, s2
	s_cselect_b32 s6, s8, s6
	s_delay_alu instid0(SALU_CYCLE_1)
	s_add_co_i32 s6, s6, 1
	s_branch .LBB217_2
.LBB217_1:                              ;   in Loop: Header=BB217_2 Depth=1
	s_or_b32 exec_lo, exec_lo, s7
	s_add_co_i32 s3, s6, s3
	v_dual_add_f32 v1, v1, v8 :: v_dual_add_f32 v2, v2, v9
	s_wait_alu 0xfffe
	s_mul_hi_u32 s7, s3, 0xaaaaaaab
	v_add_f32_e32 v3, v3, v10
	s_lshr_b32 s7, s7, 9
	s_add_co_i32 s2, s2, -1
	s_mulk_i32 s7, 0x300
	s_wait_loadcnt 0x0
	s_sub_co_i32 s3, s3, s7
	s_wait_alu 0xfffe
	s_cmp_lg_u32 s2, 0
	s_barrier_signal -1
	s_barrier_wait -1
	global_inv scope:SCOPE_SE
	s_cbranch_scc0 .LBB217_4
.LBB217_2:                              ; =>This Inner Loop Header: Depth=1
	s_wait_loadcnt 0x0
	v_dual_sub_f32 v8, v1, v2 :: v_dual_sub_f32 v9, v2, v3
	s_wait_kmcnt 0x0
	v_cmp_gt_u32_e32 vcc_lo, s3, v5
	v_mov_b32_e32 v10, v3
	s_mov_b32 s7, exec_lo
	ds_store_b32 v4, v1 offset:1024
	s_wait_dscnt 0x0
	s_wait_alu 0xfffd
	v_cndmask_b32_e32 v8, v1, v8, vcc_lo
	v_cmp_gt_u32_e32 vcc_lo, s3, v6
	s_barrier_signal -1
	s_barrier_wait -1
	global_inv scope:SCOPE_SE
	s_wait_alu 0xfffd
	v_cndmask_b32_e32 v9, v2, v9, vcc_lo
	v_cmpx_gt_u32_e64 s3, v7
	s_cbranch_execz .LBB217_1
; %bb.3:                                ;   in Loop: Header=BB217_2 Depth=1
	ds_load_b32 v10, v4 offset:1028
	s_wait_dscnt 0x0
	v_sub_f32_e32 v10, v3, v10
	s_branch .LBB217_1
.LBB217_4:
	v_lshlrev_b32_e32 v0, 2, v0
	s_add_nc_u64 s[0:1], s[0:1], s[4:5]
	s_clause 0x2
	global_store_b32 v0, v1, s[0:1]
	global_store_b32 v0, v2, s[0:1] offset:1024
	global_store_b32 v0, v3, s[0:1] offset:2048
	s_endpgm
	.section	.rodata,"a",@progbits
	.p2align	6, 0x0
	.amdhsa_kernel _Z6kernelI27subtract_right_partial_tileLj256ELj3ELb1EJPfPiS1_jEEvDpT3_
		.amdhsa_group_segment_fixed_size 2048
		.amdhsa_private_segment_fixed_size 0
		.amdhsa_kernarg_size 28
		.amdhsa_user_sgpr_count 2
		.amdhsa_user_sgpr_dispatch_ptr 0
		.amdhsa_user_sgpr_queue_ptr 0
		.amdhsa_user_sgpr_kernarg_segment_ptr 1
		.amdhsa_user_sgpr_dispatch_id 0
		.amdhsa_user_sgpr_private_segment_size 0
		.amdhsa_wavefront_size32 1
		.amdhsa_uses_dynamic_stack 0
		.amdhsa_enable_private_segment 0
		.amdhsa_system_sgpr_workgroup_id_x 1
		.amdhsa_system_sgpr_workgroup_id_y 0
		.amdhsa_system_sgpr_workgroup_id_z 0
		.amdhsa_system_sgpr_workgroup_info 0
		.amdhsa_system_vgpr_workitem_id 0
		.amdhsa_next_free_vgpr 11
		.amdhsa_next_free_sgpr 12
		.amdhsa_reserve_vcc 1
		.amdhsa_float_round_mode_32 0
		.amdhsa_float_round_mode_16_64 0
		.amdhsa_float_denorm_mode_32 3
		.amdhsa_float_denorm_mode_16_64 3
		.amdhsa_fp16_overflow 0
		.amdhsa_workgroup_processor_mode 1
		.amdhsa_memory_ordered 1
		.amdhsa_forward_progress 1
		.amdhsa_inst_pref_size 4
		.amdhsa_round_robin_scheduling 0
		.amdhsa_exception_fp_ieee_invalid_op 0
		.amdhsa_exception_fp_denorm_src 0
		.amdhsa_exception_fp_ieee_div_zero 0
		.amdhsa_exception_fp_ieee_overflow 0
		.amdhsa_exception_fp_ieee_underflow 0
		.amdhsa_exception_fp_ieee_inexact 0
		.amdhsa_exception_int_div_zero 0
	.end_amdhsa_kernel
	.section	.text._Z6kernelI27subtract_right_partial_tileLj256ELj3ELb1EJPfPiS1_jEEvDpT3_,"axG",@progbits,_Z6kernelI27subtract_right_partial_tileLj256ELj3ELb1EJPfPiS1_jEEvDpT3_,comdat
.Lfunc_end217:
	.size	_Z6kernelI27subtract_right_partial_tileLj256ELj3ELb1EJPfPiS1_jEEvDpT3_, .Lfunc_end217-_Z6kernelI27subtract_right_partial_tileLj256ELj3ELb1EJPfPiS1_jEEvDpT3_
                                        ; -- End function
	.set _Z6kernelI27subtract_right_partial_tileLj256ELj3ELb1EJPfPiS1_jEEvDpT3_.num_vgpr, 11
	.set _Z6kernelI27subtract_right_partial_tileLj256ELj3ELb1EJPfPiS1_jEEvDpT3_.num_agpr, 0
	.set _Z6kernelI27subtract_right_partial_tileLj256ELj3ELb1EJPfPiS1_jEEvDpT3_.numbered_sgpr, 12
	.set _Z6kernelI27subtract_right_partial_tileLj256ELj3ELb1EJPfPiS1_jEEvDpT3_.num_named_barrier, 0
	.set _Z6kernelI27subtract_right_partial_tileLj256ELj3ELb1EJPfPiS1_jEEvDpT3_.private_seg_size, 0
	.set _Z6kernelI27subtract_right_partial_tileLj256ELj3ELb1EJPfPiS1_jEEvDpT3_.uses_vcc, 1
	.set _Z6kernelI27subtract_right_partial_tileLj256ELj3ELb1EJPfPiS1_jEEvDpT3_.uses_flat_scratch, 0
	.set _Z6kernelI27subtract_right_partial_tileLj256ELj3ELb1EJPfPiS1_jEEvDpT3_.has_dyn_sized_stack, 0
	.set _Z6kernelI27subtract_right_partial_tileLj256ELj3ELb1EJPfPiS1_jEEvDpT3_.has_recursion, 0
	.set _Z6kernelI27subtract_right_partial_tileLj256ELj3ELb1EJPfPiS1_jEEvDpT3_.has_indirect_call, 0
	.section	.AMDGPU.csdata,"",@progbits
; Kernel info:
; codeLenInByte = 500
; TotalNumSgprs: 14
; NumVgprs: 11
; ScratchSize: 0
; MemoryBound: 0
; FloatMode: 240
; IeeeMode: 1
; LDSByteSize: 2048 bytes/workgroup (compile time only)
; SGPRBlocks: 0
; VGPRBlocks: 1
; NumSGPRsForWavesPerEU: 14
; NumVGPRsForWavesPerEU: 11
; Occupancy: 16
; WaveLimiterHint : 1
; COMPUTE_PGM_RSRC2:SCRATCH_EN: 0
; COMPUTE_PGM_RSRC2:USER_SGPR: 2
; COMPUTE_PGM_RSRC2:TRAP_HANDLER: 0
; COMPUTE_PGM_RSRC2:TGID_X_EN: 1
; COMPUTE_PGM_RSRC2:TGID_Y_EN: 0
; COMPUTE_PGM_RSRC2:TGID_Z_EN: 0
; COMPUTE_PGM_RSRC2:TIDIG_COMP_CNT: 0
	.section	.text._Z6kernelI27subtract_right_partial_tileLj256ELj4ELb1EJPfPiS1_jEEvDpT3_,"axG",@progbits,_Z6kernelI27subtract_right_partial_tileLj256ELj4ELb1EJPfPiS1_jEEvDpT3_,comdat
	.protected	_Z6kernelI27subtract_right_partial_tileLj256ELj4ELb1EJPfPiS1_jEEvDpT3_ ; -- Begin function _Z6kernelI27subtract_right_partial_tileLj256ELj4ELb1EJPfPiS1_jEEvDpT3_
	.globl	_Z6kernelI27subtract_right_partial_tileLj256ELj4ELb1EJPfPiS1_jEEvDpT3_
	.p2align	8
	.type	_Z6kernelI27subtract_right_partial_tileLj256ELj4ELb1EJPfPiS1_jEEvDpT3_,@function
_Z6kernelI27subtract_right_partial_tileLj256ELj4ELb1EJPfPiS1_jEEvDpT3_: ; @_Z6kernelI27subtract_right_partial_tileLj256ELj4ELb1EJPfPiS1_jEEvDpT3_
; %bb.0:
	s_load_b128 s[8:11], s[0:1], 0x0
	s_lshl_b32 s6, ttmp9, 10
	s_mov_b32 s7, 0
	v_lshlrev_b32_e32 v5, 2, v0
	s_lshl_b64 s[4:5], s[6:7], 2
	s_load_b96 s[0:2], s[0:1], 0x10
	s_delay_alu instid0(VALU_DEP_1)
	v_or_b32_e32 v7, 2, v5
	v_or_b32_e32 v8, 3, v5
	v_add_nc_u32_e32 v9, 4, v5
	s_wait_kmcnt 0x0
	s_add_nc_u64 s[8:9], s[8:9], s[4:5]
	s_clause 0x3
	global_load_b32 v1, v5, s[8:9]
	global_load_b32 v2, v5, s[8:9] offset:1024
	global_load_b32 v3, v5, s[8:9] offset:2048
	;; [unrolled: 1-line block ×3, first 2 shown]
	s_cvt_f32_u32 s3, s2
	s_sub_co_i32 s6, 0, s2
	s_delay_alu instid0(SALU_CYCLE_2) | instskip(NEXT) | instid1(TRANS32_DEP_1)
	v_rcp_iflag_f32_e32 v6, s3
	v_readfirstlane_b32 s3, v6
	v_or_b32_e32 v6, 1, v5
	s_mul_f32 s3, s3, 0x4f7ffffe
	s_wait_alu 0xfffe
	s_delay_alu instid0(SALU_CYCLE_2) | instskip(SKIP_1) | instid1(SALU_CYCLE_2)
	s_cvt_u32_f32 s3, s3
	s_wait_alu 0xfffe
	s_mul_i32 s6, s6, s3
	s_delay_alu instid0(SALU_CYCLE_1)
	s_mul_hi_u32 s8, s3, s6
	s_mov_b32 s6, ttmp9
	s_add_co_i32 s3, s3, s8
	s_lshl_b64 s[6:7], s[6:7], 2
	s_wait_alu 0xfffe
	s_lshr_b32 s8, s3, 22
	s_add_nc_u64 s[6:7], s[10:11], s[6:7]
	s_load_b32 s3, s[6:7], 0x0
	s_mul_i32 s6, s8, s2
	s_add_co_i32 s7, s8, 1
	s_sub_co_i32 s6, 0x400, s6
	s_delay_alu instid0(SALU_CYCLE_1)
	s_sub_co_i32 s9, s6, s2
	s_cmp_ge_u32 s6, s2
	s_cselect_b32 s7, s7, s8
	s_cselect_b32 s6, s9, s6
	s_add_co_i32 s8, s7, 1
	s_cmp_ge_u32 s6, s2
	s_cselect_b32 s6, s8, s7
	s_delay_alu instid0(SALU_CYCLE_1)
	s_add_co_i32 s6, s6, 1
	s_branch .LBB218_2
.LBB218_1:                              ;   in Loop: Header=BB218_2 Depth=1
	s_or_b32 exec_lo, exec_lo, s7
	v_dual_add_f32 v1, v1, v10 :: v_dual_add_f32 v2, v2, v11
	s_delay_alu instid0(VALU_DEP_2)
	v_dual_add_f32 v3, v3, v12 :: v_dual_add_f32 v4, v4, v13
	s_add_co_i32 s3, s6, s3
	s_add_co_i32 s2, s2, -1
	s_wait_alu 0xfffe
	s_and_b32 s3, s3, 0x3ff
	s_cmp_lg_u32 s2, 0
	s_wait_loadcnt 0x0
	s_barrier_signal -1
	s_barrier_wait -1
	global_inv scope:SCOPE_SE
	s_cbranch_scc0 .LBB218_4
.LBB218_2:                              ; =>This Inner Loop Header: Depth=1
	s_wait_loadcnt 0x1
	v_dual_sub_f32 v10, v1, v2 :: v_dual_sub_f32 v11, v2, v3
	s_wait_kmcnt 0x0
	s_wait_alu 0xfffe
	v_cmp_gt_u32_e32 vcc_lo, s3, v6
	s_mov_b32 s7, exec_lo
	ds_store_b32 v5, v1 offset:1024
	s_wait_loadcnt 0x0
	v_mov_b32_e32 v13, v4
	s_wait_dscnt 0x0
	s_wait_alu 0xfffd
	v_cndmask_b32_e32 v10, v1, v10, vcc_lo
	v_cmp_gt_u32_e32 vcc_lo, s3, v7
	v_sub_f32_e32 v12, v3, v4
	s_barrier_signal -1
	s_barrier_wait -1
	global_inv scope:SCOPE_SE
	s_wait_alu 0xfffd
	v_cndmask_b32_e32 v11, v2, v11, vcc_lo
	v_cmp_gt_u32_e32 vcc_lo, s3, v8
	s_wait_alu 0xfffd
	v_cndmask_b32_e32 v12, v3, v12, vcc_lo
	v_cmpx_gt_u32_e64 s3, v9
	s_cbranch_execz .LBB218_1
; %bb.3:                                ;   in Loop: Header=BB218_2 Depth=1
	ds_load_b32 v13, v5 offset:1028
	s_wait_dscnt 0x0
	v_sub_f32_e32 v13, v4, v13
	s_branch .LBB218_1
.LBB218_4:
	v_lshlrev_b32_e32 v0, 2, v0
	s_add_nc_u64 s[0:1], s[0:1], s[4:5]
	s_clause 0x3
	global_store_b32 v0, v1, s[0:1]
	global_store_b32 v0, v2, s[0:1] offset:1024
	global_store_b32 v0, v3, s[0:1] offset:2048
	;; [unrolled: 1-line block ×3, first 2 shown]
	s_endpgm
	.section	.rodata,"a",@progbits
	.p2align	6, 0x0
	.amdhsa_kernel _Z6kernelI27subtract_right_partial_tileLj256ELj4ELb1EJPfPiS1_jEEvDpT3_
		.amdhsa_group_segment_fixed_size 2048
		.amdhsa_private_segment_fixed_size 0
		.amdhsa_kernarg_size 28
		.amdhsa_user_sgpr_count 2
		.amdhsa_user_sgpr_dispatch_ptr 0
		.amdhsa_user_sgpr_queue_ptr 0
		.amdhsa_user_sgpr_kernarg_segment_ptr 1
		.amdhsa_user_sgpr_dispatch_id 0
		.amdhsa_user_sgpr_private_segment_size 0
		.amdhsa_wavefront_size32 1
		.amdhsa_uses_dynamic_stack 0
		.amdhsa_enable_private_segment 0
		.amdhsa_system_sgpr_workgroup_id_x 1
		.amdhsa_system_sgpr_workgroup_id_y 0
		.amdhsa_system_sgpr_workgroup_id_z 0
		.amdhsa_system_sgpr_workgroup_info 0
		.amdhsa_system_vgpr_workitem_id 0
		.amdhsa_next_free_vgpr 14
		.amdhsa_next_free_sgpr 12
		.amdhsa_reserve_vcc 1
		.amdhsa_float_round_mode_32 0
		.amdhsa_float_round_mode_16_64 0
		.amdhsa_float_denorm_mode_32 3
		.amdhsa_float_denorm_mode_16_64 3
		.amdhsa_fp16_overflow 0
		.amdhsa_workgroup_processor_mode 1
		.amdhsa_memory_ordered 1
		.amdhsa_forward_progress 1
		.amdhsa_inst_pref_size 5
		.amdhsa_round_robin_scheduling 0
		.amdhsa_exception_fp_ieee_invalid_op 0
		.amdhsa_exception_fp_denorm_src 0
		.amdhsa_exception_fp_ieee_div_zero 0
		.amdhsa_exception_fp_ieee_overflow 0
		.amdhsa_exception_fp_ieee_underflow 0
		.amdhsa_exception_fp_ieee_inexact 0
		.amdhsa_exception_int_div_zero 0
	.end_amdhsa_kernel
	.section	.text._Z6kernelI27subtract_right_partial_tileLj256ELj4ELb1EJPfPiS1_jEEvDpT3_,"axG",@progbits,_Z6kernelI27subtract_right_partial_tileLj256ELj4ELb1EJPfPiS1_jEEvDpT3_,comdat
.Lfunc_end218:
	.size	_Z6kernelI27subtract_right_partial_tileLj256ELj4ELb1EJPfPiS1_jEEvDpT3_, .Lfunc_end218-_Z6kernelI27subtract_right_partial_tileLj256ELj4ELb1EJPfPiS1_jEEvDpT3_
                                        ; -- End function
	.set _Z6kernelI27subtract_right_partial_tileLj256ELj4ELb1EJPfPiS1_jEEvDpT3_.num_vgpr, 14
	.set _Z6kernelI27subtract_right_partial_tileLj256ELj4ELb1EJPfPiS1_jEEvDpT3_.num_agpr, 0
	.set _Z6kernelI27subtract_right_partial_tileLj256ELj4ELb1EJPfPiS1_jEEvDpT3_.numbered_sgpr, 12
	.set _Z6kernelI27subtract_right_partial_tileLj256ELj4ELb1EJPfPiS1_jEEvDpT3_.num_named_barrier, 0
	.set _Z6kernelI27subtract_right_partial_tileLj256ELj4ELb1EJPfPiS1_jEEvDpT3_.private_seg_size, 0
	.set _Z6kernelI27subtract_right_partial_tileLj256ELj4ELb1EJPfPiS1_jEEvDpT3_.uses_vcc, 1
	.set _Z6kernelI27subtract_right_partial_tileLj256ELj4ELb1EJPfPiS1_jEEvDpT3_.uses_flat_scratch, 0
	.set _Z6kernelI27subtract_right_partial_tileLj256ELj4ELb1EJPfPiS1_jEEvDpT3_.has_dyn_sized_stack, 0
	.set _Z6kernelI27subtract_right_partial_tileLj256ELj4ELb1EJPfPiS1_jEEvDpT3_.has_recursion, 0
	.set _Z6kernelI27subtract_right_partial_tileLj256ELj4ELb1EJPfPiS1_jEEvDpT3_.has_indirect_call, 0
	.section	.AMDGPU.csdata,"",@progbits
; Kernel info:
; codeLenInByte = 536
; TotalNumSgprs: 14
; NumVgprs: 14
; ScratchSize: 0
; MemoryBound: 0
; FloatMode: 240
; IeeeMode: 1
; LDSByteSize: 2048 bytes/workgroup (compile time only)
; SGPRBlocks: 0
; VGPRBlocks: 1
; NumSGPRsForWavesPerEU: 14
; NumVGPRsForWavesPerEU: 14
; Occupancy: 16
; WaveLimiterHint : 1
; COMPUTE_PGM_RSRC2:SCRATCH_EN: 0
; COMPUTE_PGM_RSRC2:USER_SGPR: 2
; COMPUTE_PGM_RSRC2:TRAP_HANDLER: 0
; COMPUTE_PGM_RSRC2:TGID_X_EN: 1
; COMPUTE_PGM_RSRC2:TGID_Y_EN: 0
; COMPUTE_PGM_RSRC2:TGID_Z_EN: 0
; COMPUTE_PGM_RSRC2:TIDIG_COMP_CNT: 0
	.section	.text._Z6kernelI27subtract_right_partial_tileLj256ELj8ELb1EJPfPiS1_jEEvDpT3_,"axG",@progbits,_Z6kernelI27subtract_right_partial_tileLj256ELj8ELb1EJPfPiS1_jEEvDpT3_,comdat
	.protected	_Z6kernelI27subtract_right_partial_tileLj256ELj8ELb1EJPfPiS1_jEEvDpT3_ ; -- Begin function _Z6kernelI27subtract_right_partial_tileLj256ELj8ELb1EJPfPiS1_jEEvDpT3_
	.globl	_Z6kernelI27subtract_right_partial_tileLj256ELj8ELb1EJPfPiS1_jEEvDpT3_
	.p2align	8
	.type	_Z6kernelI27subtract_right_partial_tileLj256ELj8ELb1EJPfPiS1_jEEvDpT3_,@function
_Z6kernelI27subtract_right_partial_tileLj256ELj8ELb1EJPfPiS1_jEEvDpT3_: ; @_Z6kernelI27subtract_right_partial_tileLj256ELj8ELb1EJPfPiS1_jEEvDpT3_
; %bb.0:
	s_load_b128 s[8:11], s[0:1], 0x0
	s_lshl_b32 s6, ttmp9, 11
	s_mov_b32 s7, 0
	v_lshlrev_b32_e32 v9, 2, v0
	s_lshl_b64 s[4:5], s[6:7], 2
	s_load_b96 s[0:2], s[0:1], 0x10
	v_lshlrev_b32_e32 v17, 3, v0
	s_delay_alu instid0(VALU_DEP_1)
	v_or_b32_e32 v11, 2, v17
	v_or_b32_e32 v12, 3, v17
	;; [unrolled: 1-line block ×6, first 2 shown]
	s_wait_kmcnt 0x0
	s_add_nc_u64 s[8:9], s[8:9], s[4:5]
	s_clause 0x7
	global_load_b32 v1, v9, s[8:9]
	global_load_b32 v2, v9, s[8:9] offset:1024
	global_load_b32 v3, v9, s[8:9] offset:2048
	global_load_b32 v4, v9, s[8:9] offset:3072
	global_load_b32 v5, v9, s[8:9] offset:4096
	global_load_b32 v6, v9, s[8:9] offset:5120
	global_load_b32 v7, v9, s[8:9] offset:6144
	global_load_b32 v8, v9, s[8:9] offset:7168
	s_cvt_f32_u32 s3, s2
	s_sub_co_i32 s6, 0, s2
	s_delay_alu instid0(SALU_CYCLE_2) | instskip(NEXT) | instid1(TRANS32_DEP_1)
	v_rcp_iflag_f32_e32 v10, s3
	v_readfirstlane_b32 s3, v10
	v_or_b32_e32 v10, 1, v17
	v_add_nc_u32_e32 v17, 8, v17
	s_mul_f32 s3, s3, 0x4f7ffffe
	s_wait_alu 0xfffe
	s_delay_alu instid0(SALU_CYCLE_2) | instskip(SKIP_1) | instid1(SALU_CYCLE_2)
	s_cvt_u32_f32 s3, s3
	s_wait_alu 0xfffe
	s_mul_i32 s6, s6, s3
	s_delay_alu instid0(SALU_CYCLE_1) | instskip(NEXT) | instid1(SALU_CYCLE_1)
	s_mul_hi_u32 s6, s3, s6
	s_add_co_i32 s3, s3, s6
	s_mov_b32 s6, ttmp9
	s_wait_alu 0xfffe
	s_lshr_b32 s8, s3, 21
	s_lshl_b64 s[6:7], s[6:7], 2
	s_mul_i32 s9, s8, s2
	s_add_nc_u64 s[6:7], s[10:11], s[6:7]
	s_load_b32 s3, s[6:7], 0x0
	s_sub_co_i32 s6, 0x800, s9
	s_add_co_i32 s7, s8, 1
	s_sub_co_i32 s9, s6, s2
	s_cmp_ge_u32 s6, s2
	s_cselect_b32 s7, s7, s8
	s_cselect_b32 s6, s9, s6
	s_add_co_i32 s8, s7, 1
	s_cmp_ge_u32 s6, s2
	s_cselect_b32 s6, s8, s7
	s_delay_alu instid0(SALU_CYCLE_1)
	s_add_co_i32 s6, s6, 1
	s_branch .LBB219_2
.LBB219_1:                              ;   in Loop: Header=BB219_2 Depth=1
	s_or_b32 exec_lo, exec_lo, s7
	v_dual_sub_f32 v19, v1, v2 :: v_dual_sub_f32 v20, v2, v3
	v_cmp_gt_u32_e32 vcc_lo, s3, v10
	v_dual_sub_f32 v21, v3, v4 :: v_dual_sub_f32 v22, v4, v5
	v_dual_sub_f32 v23, v5, v6 :: v_dual_sub_f32 v24, v6, v7
	s_wait_alu 0xfffd
	v_cndmask_b32_e32 v19, v1, v19, vcc_lo
	v_cmp_gt_u32_e32 vcc_lo, s3, v11
	s_add_co_i32 s2, s2, -1
	s_wait_loadcnt 0x0
	s_barrier_signal -1
	s_barrier_wait -1
	s_wait_alu 0xfffd
	v_cndmask_b32_e32 v20, v2, v20, vcc_lo
	v_cmp_gt_u32_e32 vcc_lo, s3, v12
	global_inv scope:SCOPE_SE
	s_wait_alu 0xfffd
	v_dual_add_f32 v2, v2, v20 :: v_dual_cndmask_b32 v21, v3, v21
	v_cmp_gt_u32_e32 vcc_lo, s3, v13
	s_wait_alu 0xfffd
	v_cndmask_b32_e32 v22, v4, v22, vcc_lo
	v_cmp_gt_u32_e32 vcc_lo, s3, v14
	v_sub_f32_e32 v25, v7, v8
	v_dual_add_f32 v3, v3, v21 :: v_dual_add_f32 v8, v8, v18
	s_wait_alu 0xfffd
	v_dual_add_f32 v4, v4, v22 :: v_dual_cndmask_b32 v23, v5, v23
	v_cmp_gt_u32_e32 vcc_lo, s3, v15
	s_wait_alu 0xfffd
	v_cndmask_b32_e32 v24, v6, v24, vcc_lo
	v_cmp_gt_u32_e32 vcc_lo, s3, v16
	v_add_f32_e32 v1, v1, v19
	v_add_f32_e32 v5, v5, v23
	s_add_co_i32 s3, s6, s3
	s_wait_alu 0xfffd
	v_dual_add_f32 v6, v6, v24 :: v_dual_cndmask_b32 v25, v7, v25
	s_wait_alu 0xfffe
	s_and_b32 s3, s3, 0x7ff
	s_cmp_lg_u32 s2, 0
	s_delay_alu instid0(VALU_DEP_1)
	v_add_f32_e32 v7, v7, v25
	s_cbranch_scc0 .LBB219_4
.LBB219_2:                              ; =>This Inner Loop Header: Depth=1
	s_wait_loadcnt 0x0
	v_mov_b32_e32 v18, v8
	s_mov_b32 s7, exec_lo
	ds_store_b32 v9, v1 offset:1024
	s_wait_dscnt 0x0
	s_barrier_signal -1
	s_barrier_wait -1
	global_inv scope:SCOPE_SE
	s_wait_kmcnt 0x0
	s_wait_alu 0xfffe
	v_cmpx_gt_u32_e64 s3, v17
	s_cbranch_execz .LBB219_1
; %bb.3:                                ;   in Loop: Header=BB219_2 Depth=1
	ds_load_b32 v18, v9 offset:1028
	s_wait_dscnt 0x0
	v_sub_f32_e32 v18, v8, v18
	s_branch .LBB219_1
.LBB219_4:
	v_lshlrev_b32_e32 v0, 2, v0
	s_add_nc_u64 s[0:1], s[0:1], s[4:5]
	s_clause 0x7
	global_store_b32 v0, v1, s[0:1]
	global_store_b32 v0, v2, s[0:1] offset:1024
	global_store_b32 v0, v3, s[0:1] offset:2048
	;; [unrolled: 1-line block ×7, first 2 shown]
	s_endpgm
	.section	.rodata,"a",@progbits
	.p2align	6, 0x0
	.amdhsa_kernel _Z6kernelI27subtract_right_partial_tileLj256ELj8ELb1EJPfPiS1_jEEvDpT3_
		.amdhsa_group_segment_fixed_size 2048
		.amdhsa_private_segment_fixed_size 0
		.amdhsa_kernarg_size 28
		.amdhsa_user_sgpr_count 2
		.amdhsa_user_sgpr_dispatch_ptr 0
		.amdhsa_user_sgpr_queue_ptr 0
		.amdhsa_user_sgpr_kernarg_segment_ptr 1
		.amdhsa_user_sgpr_dispatch_id 0
		.amdhsa_user_sgpr_private_segment_size 0
		.amdhsa_wavefront_size32 1
		.amdhsa_uses_dynamic_stack 0
		.amdhsa_enable_private_segment 0
		.amdhsa_system_sgpr_workgroup_id_x 1
		.amdhsa_system_sgpr_workgroup_id_y 0
		.amdhsa_system_sgpr_workgroup_id_z 0
		.amdhsa_system_sgpr_workgroup_info 0
		.amdhsa_system_vgpr_workitem_id 0
		.amdhsa_next_free_vgpr 26
		.amdhsa_next_free_sgpr 12
		.amdhsa_reserve_vcc 1
		.amdhsa_float_round_mode_32 0
		.amdhsa_float_round_mode_16_64 0
		.amdhsa_float_denorm_mode_32 3
		.amdhsa_float_denorm_mode_16_64 3
		.amdhsa_fp16_overflow 0
		.amdhsa_workgroup_processor_mode 1
		.amdhsa_memory_ordered 1
		.amdhsa_forward_progress 1
		.amdhsa_inst_pref_size 6
		.amdhsa_round_robin_scheduling 0
		.amdhsa_exception_fp_ieee_invalid_op 0
		.amdhsa_exception_fp_denorm_src 0
		.amdhsa_exception_fp_ieee_div_zero 0
		.amdhsa_exception_fp_ieee_overflow 0
		.amdhsa_exception_fp_ieee_underflow 0
		.amdhsa_exception_fp_ieee_inexact 0
		.amdhsa_exception_int_div_zero 0
	.end_amdhsa_kernel
	.section	.text._Z6kernelI27subtract_right_partial_tileLj256ELj8ELb1EJPfPiS1_jEEvDpT3_,"axG",@progbits,_Z6kernelI27subtract_right_partial_tileLj256ELj8ELb1EJPfPiS1_jEEvDpT3_,comdat
.Lfunc_end219:
	.size	_Z6kernelI27subtract_right_partial_tileLj256ELj8ELb1EJPfPiS1_jEEvDpT3_, .Lfunc_end219-_Z6kernelI27subtract_right_partial_tileLj256ELj8ELb1EJPfPiS1_jEEvDpT3_
                                        ; -- End function
	.set _Z6kernelI27subtract_right_partial_tileLj256ELj8ELb1EJPfPiS1_jEEvDpT3_.num_vgpr, 26
	.set _Z6kernelI27subtract_right_partial_tileLj256ELj8ELb1EJPfPiS1_jEEvDpT3_.num_agpr, 0
	.set _Z6kernelI27subtract_right_partial_tileLj256ELj8ELb1EJPfPiS1_jEEvDpT3_.numbered_sgpr, 12
	.set _Z6kernelI27subtract_right_partial_tileLj256ELj8ELb1EJPfPiS1_jEEvDpT3_.num_named_barrier, 0
	.set _Z6kernelI27subtract_right_partial_tileLj256ELj8ELb1EJPfPiS1_jEEvDpT3_.private_seg_size, 0
	.set _Z6kernelI27subtract_right_partial_tileLj256ELj8ELb1EJPfPiS1_jEEvDpT3_.uses_vcc, 1
	.set _Z6kernelI27subtract_right_partial_tileLj256ELj8ELb1EJPfPiS1_jEEvDpT3_.uses_flat_scratch, 0
	.set _Z6kernelI27subtract_right_partial_tileLj256ELj8ELb1EJPfPiS1_jEEvDpT3_.has_dyn_sized_stack, 0
	.set _Z6kernelI27subtract_right_partial_tileLj256ELj8ELb1EJPfPiS1_jEEvDpT3_.has_recursion, 0
	.set _Z6kernelI27subtract_right_partial_tileLj256ELj8ELb1EJPfPiS1_jEEvDpT3_.has_indirect_call, 0
	.section	.AMDGPU.csdata,"",@progbits
; Kernel info:
; codeLenInByte = 724
; TotalNumSgprs: 14
; NumVgprs: 26
; ScratchSize: 0
; MemoryBound: 0
; FloatMode: 240
; IeeeMode: 1
; LDSByteSize: 2048 bytes/workgroup (compile time only)
; SGPRBlocks: 0
; VGPRBlocks: 3
; NumSGPRsForWavesPerEU: 14
; NumVGPRsForWavesPerEU: 26
; Occupancy: 16
; WaveLimiterHint : 1
; COMPUTE_PGM_RSRC2:SCRATCH_EN: 0
; COMPUTE_PGM_RSRC2:USER_SGPR: 2
; COMPUTE_PGM_RSRC2:TRAP_HANDLER: 0
; COMPUTE_PGM_RSRC2:TGID_X_EN: 1
; COMPUTE_PGM_RSRC2:TGID_Y_EN: 0
; COMPUTE_PGM_RSRC2:TGID_Z_EN: 0
; COMPUTE_PGM_RSRC2:TIDIG_COMP_CNT: 0
	.section	.text._Z6kernelI27subtract_right_partial_tileLj256ELj16ELb1EJPfPiS1_jEEvDpT3_,"axG",@progbits,_Z6kernelI27subtract_right_partial_tileLj256ELj16ELb1EJPfPiS1_jEEvDpT3_,comdat
	.protected	_Z6kernelI27subtract_right_partial_tileLj256ELj16ELb1EJPfPiS1_jEEvDpT3_ ; -- Begin function _Z6kernelI27subtract_right_partial_tileLj256ELj16ELb1EJPfPiS1_jEEvDpT3_
	.globl	_Z6kernelI27subtract_right_partial_tileLj256ELj16ELb1EJPfPiS1_jEEvDpT3_
	.p2align	8
	.type	_Z6kernelI27subtract_right_partial_tileLj256ELj16ELb1EJPfPiS1_jEEvDpT3_,@function
_Z6kernelI27subtract_right_partial_tileLj256ELj16ELb1EJPfPiS1_jEEvDpT3_: ; @_Z6kernelI27subtract_right_partial_tileLj256ELj16ELb1EJPfPiS1_jEEvDpT3_
; %bb.0:
	s_load_b128 s[4:7], s[0:1], 0x0
	s_lshl_b32 s10, ttmp9, 12
	s_mov_b32 s11, 0
	v_lshlrev_b32_e32 v17, 2, v0
	s_lshl_b64 s[8:9], s[10:11], 2
	s_load_b96 s[0:2], s[0:1], 0x10
	s_mov_b32 s10, ttmp9
	v_lshlrev_b32_e32 v33, 4, v0
	s_delay_alu instid0(VALU_DEP_1)
	v_or_b32_e32 v19, 2, v33
	v_or_b32_e32 v20, 3, v33
	;; [unrolled: 1-line block ×8, first 2 shown]
	s_wait_kmcnt 0x0
	s_add_nc_u64 s[4:5], s[4:5], s[8:9]
	v_or_b32_e32 v27, 10, v33
	s_clause 0xf
	global_load_b32 v16, v17, s[4:5]
	global_load_b32 v15, v17, s[4:5] offset:1024
	global_load_b32 v14, v17, s[4:5] offset:2048
	;; [unrolled: 1-line block ×15, first 2 shown]
	v_or_b32_e32 v28, 11, v33
	v_or_b32_e32 v29, 12, v33
	s_cvt_f32_u32 s3, s2
	s_sub_co_i32 s4, 0, s2
	v_or_b32_e32 v30, 13, v33
	v_or_b32_e32 v31, 14, v33
	v_rcp_iflag_f32_e32 v18, s3
	v_or_b32_e32 v32, 15, v33
	s_delay_alu instid0(TRANS32_DEP_1) | instskip(SKIP_4) | instid1(SALU_CYCLE_2)
	v_readfirstlane_b32 s3, v18
	v_or_b32_e32 v18, 1, v33
	v_add_nc_u32_e32 v33, 16, v33
	s_mul_f32 s3, s3, 0x4f7ffffe
	s_wait_alu 0xfffe
	s_cvt_u32_f32 s3, s3
	s_wait_alu 0xfffe
	s_delay_alu instid0(SALU_CYCLE_2) | instskip(NEXT) | instid1(SALU_CYCLE_1)
	s_mul_i32 s4, s4, s3
	s_mul_hi_u32 s4, s3, s4
	s_delay_alu instid0(SALU_CYCLE_1)
	s_add_co_i32 s3, s3, s4
	s_lshl_b64 s[4:5], s[10:11], 2
	s_wait_alu 0xfffe
	s_lshr_b32 s10, s3, 20
	s_add_nc_u64 s[4:5], s[6:7], s[4:5]
	s_mul_i32 s6, s10, s2
	s_load_b32 s3, s[4:5], 0x0
	s_sub_co_i32 s4, 0x1000, s6
	s_add_co_i32 s5, s10, 1
	s_sub_co_i32 s6, s4, s2
	s_cmp_ge_u32 s4, s2
	s_cselect_b32 s5, s5, s10
	s_cselect_b32 s4, s6, s4
	s_add_co_i32 s6, s5, 1
	s_cmp_ge_u32 s4, s2
	s_cselect_b32 s4, s6, s5
	s_delay_alu instid0(SALU_CYCLE_1)
	s_add_co_i32 s4, s4, 1
	s_branch .LBB220_2
.LBB220_1:                              ;   in Loop: Header=BB220_2 Depth=1
	s_or_b32 exec_lo, exec_lo, s5
	v_dual_sub_f32 v35, v16, v15 :: v_dual_sub_f32 v36, v15, v14
	v_cmp_gt_u32_e32 vcc_lo, s3, v18
	v_dual_sub_f32 v39, v12, v11 :: v_dual_sub_f32 v40, v11, v10
	v_dual_sub_f32 v38, v13, v12 :: v_dual_sub_f32 v41, v10, v9
	s_wait_alu 0xfffd
	v_dual_sub_f32 v42, v9, v8 :: v_dual_cndmask_b32 v35, v16, v35
	v_cmp_gt_u32_e32 vcc_lo, s3, v19
	v_sub_f32_e32 v37, v14, v13
	v_dual_sub_f32 v43, v8, v7 :: v_dual_sub_f32 v44, v7, v6
	v_dual_sub_f32 v45, v6, v5 :: v_dual_sub_f32 v46, v5, v4
	s_wait_alu 0xfffd
	v_cndmask_b32_e32 v36, v15, v36, vcc_lo
	v_cmp_gt_u32_e32 vcc_lo, s3, v20
	v_dual_sub_f32 v47, v4, v3 :: v_dual_sub_f32 v48, v3, v2
	s_add_co_i32 s2, s2, -1
	s_wait_loadcnt 0x0
	s_wait_alu 0xfffd
	v_cndmask_b32_e32 v37, v14, v37, vcc_lo
	v_cmp_gt_u32_e32 vcc_lo, s3, v21
	s_barrier_signal -1
	s_barrier_wait -1
	global_inv scope:SCOPE_SE
	v_add_f32_e32 v16, v16, v35
	s_wait_alu 0xfffd
	v_cndmask_b32_e32 v38, v13, v38, vcc_lo
	v_cmp_gt_u32_e32 vcc_lo, s3, v22
	s_wait_alu 0xfffd
	v_dual_add_f32 v14, v14, v37 :: v_dual_cndmask_b32 v39, v12, v39
	v_cmp_gt_u32_e32 vcc_lo, s3, v23
	s_wait_alu 0xfffd
	v_cndmask_b32_e32 v40, v11, v40, vcc_lo
	v_cmp_gt_u32_e32 vcc_lo, s3, v24
	v_dual_add_f32 v15, v15, v36 :: v_dual_add_f32 v12, v12, v39
	s_wait_alu 0xfffd
	v_cndmask_b32_e32 v41, v10, v41, vcc_lo
	v_cmp_gt_u32_e32 vcc_lo, s3, v25
	s_wait_alu 0xfffd
	v_cndmask_b32_e32 v42, v9, v42, vcc_lo
	v_cmp_gt_u32_e32 vcc_lo, s3, v26
	v_dual_add_f32 v13, v13, v38 :: v_dual_add_f32 v10, v10, v41
	s_wait_alu 0xfffd
	v_cndmask_b32_e32 v43, v8, v43, vcc_lo
	;; [unrolled: 7-line block ×4, first 2 shown]
	v_cmp_gt_u32_e32 vcc_lo, s3, v31
	v_sub_f32_e32 v49, v2, v1
	v_add_f32_e32 v7, v7, v44
	s_delay_alu instid0(VALU_DEP_4)
	v_dual_add_f32 v1, v1, v34 :: v_dual_add_f32 v4, v4, v47
	s_wait_alu 0xfffd
	v_cndmask_b32_e32 v48, v3, v48, vcc_lo
	v_cmp_gt_u32_e32 vcc_lo, s3, v32
	s_add_co_i32 s3, s4, s3
	s_wait_alu 0xfffe
	s_and_b32 s3, s3, 0xfff
	v_add_f32_e32 v3, v3, v48
	s_wait_alu 0xfffd
	v_cndmask_b32_e32 v49, v2, v49, vcc_lo
	v_add_f32_e32 v5, v5, v46
	s_cmp_lg_u32 s2, 0
	s_delay_alu instid0(VALU_DEP_2)
	v_add_f32_e32 v2, v2, v49
	s_cbranch_scc0 .LBB220_4
.LBB220_2:                              ; =>This Inner Loop Header: Depth=1
	s_wait_loadcnt 0x0
	v_mov_b32_e32 v34, v1
	s_mov_b32 s5, exec_lo
	ds_store_b32 v17, v16 offset:1024
	s_wait_dscnt 0x0
	s_barrier_signal -1
	s_barrier_wait -1
	global_inv scope:SCOPE_SE
	s_wait_kmcnt 0x0
	s_wait_alu 0xfffe
	v_cmpx_gt_u32_e64 s3, v33
	s_cbranch_execz .LBB220_1
; %bb.3:                                ;   in Loop: Header=BB220_2 Depth=1
	ds_load_b32 v34, v17 offset:1028
	s_wait_dscnt 0x0
	v_sub_f32_e32 v34, v1, v34
	s_branch .LBB220_1
.LBB220_4:
	v_lshlrev_b32_e32 v0, 2, v0
	s_add_nc_u64 s[0:1], s[0:1], s[8:9]
	s_clause 0xf
	global_store_b32 v0, v16, s[0:1]
	global_store_b32 v0, v15, s[0:1] offset:1024
	global_store_b32 v0, v14, s[0:1] offset:2048
	;; [unrolled: 1-line block ×15, first 2 shown]
	s_endpgm
	.section	.rodata,"a",@progbits
	.p2align	6, 0x0
	.amdhsa_kernel _Z6kernelI27subtract_right_partial_tileLj256ELj16ELb1EJPfPiS1_jEEvDpT3_
		.amdhsa_group_segment_fixed_size 2048
		.amdhsa_private_segment_fixed_size 0
		.amdhsa_kernarg_size 28
		.amdhsa_user_sgpr_count 2
		.amdhsa_user_sgpr_dispatch_ptr 0
		.amdhsa_user_sgpr_queue_ptr 0
		.amdhsa_user_sgpr_kernarg_segment_ptr 1
		.amdhsa_user_sgpr_dispatch_id 0
		.amdhsa_user_sgpr_private_segment_size 0
		.amdhsa_wavefront_size32 1
		.amdhsa_uses_dynamic_stack 0
		.amdhsa_enable_private_segment 0
		.amdhsa_system_sgpr_workgroup_id_x 1
		.amdhsa_system_sgpr_workgroup_id_y 0
		.amdhsa_system_sgpr_workgroup_id_z 0
		.amdhsa_system_sgpr_workgroup_info 0
		.amdhsa_system_vgpr_workitem_id 0
		.amdhsa_next_free_vgpr 50
		.amdhsa_next_free_sgpr 12
		.amdhsa_reserve_vcc 1
		.amdhsa_float_round_mode_32 0
		.amdhsa_float_round_mode_16_64 0
		.amdhsa_float_denorm_mode_32 3
		.amdhsa_float_denorm_mode_16_64 3
		.amdhsa_fp16_overflow 0
		.amdhsa_workgroup_processor_mode 1
		.amdhsa_memory_ordered 1
		.amdhsa_forward_progress 1
		.amdhsa_inst_pref_size 9
		.amdhsa_round_robin_scheduling 0
		.amdhsa_exception_fp_ieee_invalid_op 0
		.amdhsa_exception_fp_denorm_src 0
		.amdhsa_exception_fp_ieee_div_zero 0
		.amdhsa_exception_fp_ieee_overflow 0
		.amdhsa_exception_fp_ieee_underflow 0
		.amdhsa_exception_fp_ieee_inexact 0
		.amdhsa_exception_int_div_zero 0
	.end_amdhsa_kernel
	.section	.text._Z6kernelI27subtract_right_partial_tileLj256ELj16ELb1EJPfPiS1_jEEvDpT3_,"axG",@progbits,_Z6kernelI27subtract_right_partial_tileLj256ELj16ELb1EJPfPiS1_jEEvDpT3_,comdat
.Lfunc_end220:
	.size	_Z6kernelI27subtract_right_partial_tileLj256ELj16ELb1EJPfPiS1_jEEvDpT3_, .Lfunc_end220-_Z6kernelI27subtract_right_partial_tileLj256ELj16ELb1EJPfPiS1_jEEvDpT3_
                                        ; -- End function
	.set _Z6kernelI27subtract_right_partial_tileLj256ELj16ELb1EJPfPiS1_jEEvDpT3_.num_vgpr, 50
	.set _Z6kernelI27subtract_right_partial_tileLj256ELj16ELb1EJPfPiS1_jEEvDpT3_.num_agpr, 0
	.set _Z6kernelI27subtract_right_partial_tileLj256ELj16ELb1EJPfPiS1_jEEvDpT3_.numbered_sgpr, 12
	.set _Z6kernelI27subtract_right_partial_tileLj256ELj16ELb1EJPfPiS1_jEEvDpT3_.num_named_barrier, 0
	.set _Z6kernelI27subtract_right_partial_tileLj256ELj16ELb1EJPfPiS1_jEEvDpT3_.private_seg_size, 0
	.set _Z6kernelI27subtract_right_partial_tileLj256ELj16ELb1EJPfPiS1_jEEvDpT3_.uses_vcc, 1
	.set _Z6kernelI27subtract_right_partial_tileLj256ELj16ELb1EJPfPiS1_jEEvDpT3_.uses_flat_scratch, 0
	.set _Z6kernelI27subtract_right_partial_tileLj256ELj16ELb1EJPfPiS1_jEEvDpT3_.has_dyn_sized_stack, 0
	.set _Z6kernelI27subtract_right_partial_tileLj256ELj16ELb1EJPfPiS1_jEEvDpT3_.has_recursion, 0
	.set _Z6kernelI27subtract_right_partial_tileLj256ELj16ELb1EJPfPiS1_jEEvDpT3_.has_indirect_call, 0
	.section	.AMDGPU.csdata,"",@progbits
; Kernel info:
; codeLenInByte = 1112
; TotalNumSgprs: 14
; NumVgprs: 50
; ScratchSize: 0
; MemoryBound: 0
; FloatMode: 240
; IeeeMode: 1
; LDSByteSize: 2048 bytes/workgroup (compile time only)
; SGPRBlocks: 0
; VGPRBlocks: 6
; NumSGPRsForWavesPerEU: 14
; NumVGPRsForWavesPerEU: 50
; Occupancy: 16
; WaveLimiterHint : 1
; COMPUTE_PGM_RSRC2:SCRATCH_EN: 0
; COMPUTE_PGM_RSRC2:USER_SGPR: 2
; COMPUTE_PGM_RSRC2:TRAP_HANDLER: 0
; COMPUTE_PGM_RSRC2:TGID_X_EN: 1
; COMPUTE_PGM_RSRC2:TGID_Y_EN: 0
; COMPUTE_PGM_RSRC2:TGID_Z_EN: 0
; COMPUTE_PGM_RSRC2:TIDIG_COMP_CNT: 0
	.section	.text._Z6kernelI27subtract_right_partial_tileLj256ELj32ELb1EJPfPiS1_jEEvDpT3_,"axG",@progbits,_Z6kernelI27subtract_right_partial_tileLj256ELj32ELb1EJPfPiS1_jEEvDpT3_,comdat
	.protected	_Z6kernelI27subtract_right_partial_tileLj256ELj32ELb1EJPfPiS1_jEEvDpT3_ ; -- Begin function _Z6kernelI27subtract_right_partial_tileLj256ELj32ELb1EJPfPiS1_jEEvDpT3_
	.globl	_Z6kernelI27subtract_right_partial_tileLj256ELj32ELb1EJPfPiS1_jEEvDpT3_
	.p2align	8
	.type	_Z6kernelI27subtract_right_partial_tileLj256ELj32ELb1EJPfPiS1_jEEvDpT3_,@function
_Z6kernelI27subtract_right_partial_tileLj256ELj32ELb1EJPfPiS1_jEEvDpT3_: ; @_Z6kernelI27subtract_right_partial_tileLj256ELj32ELb1EJPfPiS1_jEEvDpT3_
; %bb.0:
	s_load_b128 s[4:7], s[0:1], 0x0
	s_lshl_b32 s10, ttmp9, 13
	s_mov_b32 s11, 0
	v_lshlrev_b32_e32 v33, 2, v0
	s_lshl_b64 s[8:9], s[10:11], 2
	s_load_b96 s[0:2], s[0:1], 0x10
	s_mov_b32 s10, ttmp9
	v_lshlrev_b32_e32 v65, 5, v0
	s_delay_alu instid0(VALU_DEP_1)
	v_or_b32_e32 v35, 2, v65
	v_or_b32_e32 v36, 3, v65
	;; [unrolled: 1-line block ×8, first 2 shown]
	s_wait_kmcnt 0x0
	s_add_nc_u64 s[4:5], s[4:5], s[8:9]
	v_or_b32_e32 v43, 10, v65
	s_clause 0x1f
	global_load_b32 v32, v33, s[4:5]
	global_load_b32 v31, v33, s[4:5] offset:1024
	global_load_b32 v30, v33, s[4:5] offset:2048
	;; [unrolled: 1-line block ×31, first 2 shown]
	v_or_b32_e32 v44, 11, v65
	v_or_b32_e32 v45, 12, v65
	s_cvt_f32_u32 s3, s2
	s_sub_co_i32 s4, 0, s2
	v_or_b32_e32 v46, 13, v65
	v_or_b32_e32 v47, 14, v65
	v_rcp_iflag_f32_e32 v34, s3
	v_or_b32_e32 v48, 15, v65
	v_or_b32_e32 v49, 16, v65
	;; [unrolled: 1-line block ×9, first 2 shown]
	v_readfirstlane_b32 s3, v34
	v_or_b32_e32 v34, 1, v65
	v_or_b32_e32 v57, 24, v65
	;; [unrolled: 1-line block ×4, first 2 shown]
	s_mul_f32 s3, s3, 0x4f7ffffe
	v_or_b32_e32 v60, 27, v65
	v_or_b32_e32 v61, 28, v65
	;; [unrolled: 1-line block ×3, first 2 shown]
	s_wait_alu 0xfffe
	s_cvt_u32_f32 s3, s3
	v_or_b32_e32 v63, 30, v65
	v_or_b32_e32 v64, 31, v65
	v_add_nc_u32_e32 v65, 32, v65
	s_wait_alu 0xfffe
	s_mul_i32 s4, s4, s3
	s_delay_alu instid0(SALU_CYCLE_1) | instskip(NEXT) | instid1(SALU_CYCLE_1)
	s_mul_hi_u32 s4, s3, s4
	s_add_co_i32 s3, s3, s4
	s_lshl_b64 s[4:5], s[10:11], 2
	s_wait_alu 0xfffe
	s_lshr_b32 s10, s3, 19
	s_add_nc_u64 s[4:5], s[6:7], s[4:5]
	s_mul_i32 s6, s10, s2
	s_load_b32 s3, s[4:5], 0x0
	s_sub_co_i32 s4, 0x2000, s6
	s_add_co_i32 s5, s10, 1
	s_sub_co_i32 s6, s4, s2
	s_cmp_ge_u32 s4, s2
	s_cselect_b32 s5, s5, s10
	s_cselect_b32 s4, s6, s4
	s_add_co_i32 s6, s5, 1
	s_cmp_ge_u32 s4, s2
	s_cselect_b32 s4, s6, s5
	s_delay_alu instid0(SALU_CYCLE_1)
	s_add_co_i32 s4, s4, 1
	s_branch .LBB221_2
.LBB221_1:                              ;   in Loop: Header=BB221_2 Depth=1
	s_or_b32 exec_lo, exec_lo, s5
	v_dual_sub_f32 v67, v32, v31 :: v_dual_sub_f32 v68, v31, v30
	v_cmp_gt_u32_e32 vcc_lo, s3, v34
	v_dual_sub_f32 v71, v28, v27 :: v_dual_sub_f32 v72, v27, v26
	v_dual_sub_f32 v70, v29, v28 :: v_dual_sub_f32 v73, v26, v25
	s_wait_alu 0xfffd
	v_dual_sub_f32 v74, v25, v24 :: v_dual_cndmask_b32 v67, v32, v67
	v_cmp_gt_u32_e32 vcc_lo, s3, v35
	v_sub_f32_e32 v69, v30, v29
	v_dual_sub_f32 v75, v24, v23 :: v_dual_sub_f32 v76, v23, v22
	v_dual_sub_f32 v77, v22, v21 :: v_dual_sub_f32 v78, v21, v20
	s_wait_alu 0xfffd
	v_cndmask_b32_e32 v68, v31, v68, vcc_lo
	v_cmp_gt_u32_e32 vcc_lo, s3, v36
	v_dual_sub_f32 v79, v20, v19 :: v_dual_sub_f32 v80, v19, v18
	v_dual_sub_f32 v81, v18, v17 :: v_dual_sub_f32 v82, v17, v16
	s_wait_alu 0xfffd
	v_cndmask_b32_e32 v69, v30, v69, vcc_lo
	v_cmp_gt_u32_e32 vcc_lo, s3, v37
	;; [unrolled: 5-line block ×4, first 2 shown]
	v_dual_sub_f32 v91, v8, v7 :: v_dual_sub_f32 v92, v7, v6
	v_dual_add_f32 v32, v32, v67 :: v_dual_add_f32 v31, v31, v68
	s_wait_alu 0xfffd
	v_cndmask_b32_e32 v72, v27, v72, vcc_lo
	v_cmp_gt_u32_e32 vcc_lo, s3, v40
	v_dual_sub_f32 v67, v4, v3 :: v_dual_sub_f32 v68, v3, v2
	s_add_co_i32 s2, s2, -1
	s_wait_loadcnt 0x0
	s_wait_alu 0xfffd
	v_cndmask_b32_e32 v73, v26, v73, vcc_lo
	v_cmp_gt_u32_e32 vcc_lo, s3, v41
	s_barrier_signal -1
	s_barrier_wait -1
	global_inv scope:SCOPE_SE
	v_sub_f32_e32 v94, v5, v4
	s_wait_alu 0xfffd
	v_cndmask_b32_e32 v74, v25, v74, vcc_lo
	v_cmp_gt_u32_e32 vcc_lo, s3, v42
	v_dual_add_f32 v29, v29, v70 :: v_dual_add_f32 v26, v26, v73
	v_add_f32_e32 v28, v28, v71
	s_wait_alu 0xfffd
	v_cndmask_b32_e32 v75, v24, v75, vcc_lo
	v_cmp_gt_u32_e32 vcc_lo, s3, v43
	s_wait_alu 0xfffd
	v_cndmask_b32_e32 v76, v23, v76, vcc_lo
	v_cmp_gt_u32_e32 vcc_lo, s3, v44
	v_dual_add_f32 v27, v27, v72 :: v_dual_add_f32 v24, v24, v75
	s_wait_alu 0xfffd
	v_cndmask_b32_e32 v77, v22, v77, vcc_lo
	v_cmp_gt_u32_e32 vcc_lo, s3, v45
	s_wait_alu 0xfffd
	v_cndmask_b32_e32 v78, v21, v78, vcc_lo
	v_cmp_gt_u32_e32 vcc_lo, s3, v46
	v_dual_add_f32 v25, v25, v74 :: v_dual_add_f32 v22, v22, v77
	;; [unrolled: 7-line block ×8, first 2 shown]
	s_wait_alu 0xfffd
	v_cndmask_b32_e32 v91, v8, v91, vcc_lo
	v_cmp_gt_u32_e32 vcc_lo, s3, v59
	v_sub_f32_e32 v93, v6, v5
	s_delay_alu instid0(VALU_DEP_3)
	v_dual_add_f32 v11, v11, v88 :: v_dual_add_f32 v8, v8, v91
	s_wait_alu 0xfffd
	v_cndmask_b32_e32 v92, v7, v92, vcc_lo
	v_cmp_gt_u32_e32 vcc_lo, s3, v60
	s_wait_alu 0xfffd
	v_cndmask_b32_e32 v93, v6, v93, vcc_lo
	v_cmp_gt_u32_e32 vcc_lo, s3, v61
	;; [unrolled: 3-line block ×3, first 2 shown]
	v_dual_add_f32 v30, v30, v69 :: v_dual_add_f32 v9, v9, v90
	s_wait_alu 0xfffd
	v_dual_add_f32 v6, v6, v93 :: v_dual_cndmask_b32 v67, v4, v67
	v_cmp_gt_u32_e32 vcc_lo, s3, v63
	v_sub_f32_e32 v69, v2, v1
	v_add_f32_e32 v7, v7, v92
	s_delay_alu instid0(VALU_DEP_4)
	v_dual_add_f32 v1, v1, v66 :: v_dual_add_f32 v4, v4, v67
	s_wait_alu 0xfffd
	v_cndmask_b32_e32 v68, v3, v68, vcc_lo
	v_cmp_gt_u32_e32 vcc_lo, s3, v64
	s_add_co_i32 s3, s4, s3
	s_wait_alu 0xfffe
	s_and_b32 s3, s3, 0x1fff
	v_add_f32_e32 v3, v3, v68
	s_wait_alu 0xfffd
	v_cndmask_b32_e32 v69, v2, v69, vcc_lo
	v_add_f32_e32 v5, v5, v94
	s_cmp_lg_u32 s2, 0
	s_delay_alu instid0(VALU_DEP_2)
	v_add_f32_e32 v2, v2, v69
	s_cbranch_scc0 .LBB221_4
.LBB221_2:                              ; =>This Inner Loop Header: Depth=1
	s_wait_loadcnt 0x0
	v_mov_b32_e32 v66, v1
	s_mov_b32 s5, exec_lo
	ds_store_b32 v33, v32 offset:1024
	s_wait_dscnt 0x0
	s_barrier_signal -1
	s_barrier_wait -1
	global_inv scope:SCOPE_SE
	s_wait_kmcnt 0x0
	s_wait_alu 0xfffe
	v_cmpx_gt_u32_e64 s3, v65
	s_cbranch_execz .LBB221_1
; %bb.3:                                ;   in Loop: Header=BB221_2 Depth=1
	ds_load_b32 v66, v33 offset:1028
	s_wait_dscnt 0x0
	v_sub_f32_e32 v66, v1, v66
	s_branch .LBB221_1
.LBB221_4:
	v_lshlrev_b32_e32 v0, 2, v0
	s_add_nc_u64 s[0:1], s[0:1], s[8:9]
	s_clause 0x1f
	global_store_b32 v0, v32, s[0:1]
	global_store_b32 v0, v31, s[0:1] offset:1024
	global_store_b32 v0, v30, s[0:1] offset:2048
	;; [unrolled: 1-line block ×31, first 2 shown]
	s_endpgm
	.section	.rodata,"a",@progbits
	.p2align	6, 0x0
	.amdhsa_kernel _Z6kernelI27subtract_right_partial_tileLj256ELj32ELb1EJPfPiS1_jEEvDpT3_
		.amdhsa_group_segment_fixed_size 2048
		.amdhsa_private_segment_fixed_size 0
		.amdhsa_kernarg_size 28
		.amdhsa_user_sgpr_count 2
		.amdhsa_user_sgpr_dispatch_ptr 0
		.amdhsa_user_sgpr_queue_ptr 0
		.amdhsa_user_sgpr_kernarg_segment_ptr 1
		.amdhsa_user_sgpr_dispatch_id 0
		.amdhsa_user_sgpr_private_segment_size 0
		.amdhsa_wavefront_size32 1
		.amdhsa_uses_dynamic_stack 0
		.amdhsa_enable_private_segment 0
		.amdhsa_system_sgpr_workgroup_id_x 1
		.amdhsa_system_sgpr_workgroup_id_y 0
		.amdhsa_system_sgpr_workgroup_id_z 0
		.amdhsa_system_sgpr_workgroup_info 0
		.amdhsa_system_vgpr_workitem_id 0
		.amdhsa_next_free_vgpr 95
		.amdhsa_next_free_sgpr 12
		.amdhsa_reserve_vcc 1
		.amdhsa_float_round_mode_32 0
		.amdhsa_float_round_mode_16_64 0
		.amdhsa_float_denorm_mode_32 3
		.amdhsa_float_denorm_mode_16_64 3
		.amdhsa_fp16_overflow 0
		.amdhsa_workgroup_processor_mode 1
		.amdhsa_memory_ordered 1
		.amdhsa_forward_progress 1
		.amdhsa_inst_pref_size 15
		.amdhsa_round_robin_scheduling 0
		.amdhsa_exception_fp_ieee_invalid_op 0
		.amdhsa_exception_fp_denorm_src 0
		.amdhsa_exception_fp_ieee_div_zero 0
		.amdhsa_exception_fp_ieee_overflow 0
		.amdhsa_exception_fp_ieee_underflow 0
		.amdhsa_exception_fp_ieee_inexact 0
		.amdhsa_exception_int_div_zero 0
	.end_amdhsa_kernel
	.section	.text._Z6kernelI27subtract_right_partial_tileLj256ELj32ELb1EJPfPiS1_jEEvDpT3_,"axG",@progbits,_Z6kernelI27subtract_right_partial_tileLj256ELj32ELb1EJPfPiS1_jEEvDpT3_,comdat
.Lfunc_end221:
	.size	_Z6kernelI27subtract_right_partial_tileLj256ELj32ELb1EJPfPiS1_jEEvDpT3_, .Lfunc_end221-_Z6kernelI27subtract_right_partial_tileLj256ELj32ELb1EJPfPiS1_jEEvDpT3_
                                        ; -- End function
	.set _Z6kernelI27subtract_right_partial_tileLj256ELj32ELb1EJPfPiS1_jEEvDpT3_.num_vgpr, 95
	.set _Z6kernelI27subtract_right_partial_tileLj256ELj32ELb1EJPfPiS1_jEEvDpT3_.num_agpr, 0
	.set _Z6kernelI27subtract_right_partial_tileLj256ELj32ELb1EJPfPiS1_jEEvDpT3_.numbered_sgpr, 12
	.set _Z6kernelI27subtract_right_partial_tileLj256ELj32ELb1EJPfPiS1_jEEvDpT3_.num_named_barrier, 0
	.set _Z6kernelI27subtract_right_partial_tileLj256ELj32ELb1EJPfPiS1_jEEvDpT3_.private_seg_size, 0
	.set _Z6kernelI27subtract_right_partial_tileLj256ELj32ELb1EJPfPiS1_jEEvDpT3_.uses_vcc, 1
	.set _Z6kernelI27subtract_right_partial_tileLj256ELj32ELb1EJPfPiS1_jEEvDpT3_.uses_flat_scratch, 0
	.set _Z6kernelI27subtract_right_partial_tileLj256ELj32ELb1EJPfPiS1_jEEvDpT3_.has_dyn_sized_stack, 0
	.set _Z6kernelI27subtract_right_partial_tileLj256ELj32ELb1EJPfPiS1_jEEvDpT3_.has_recursion, 0
	.set _Z6kernelI27subtract_right_partial_tileLj256ELj32ELb1EJPfPiS1_jEEvDpT3_.has_indirect_call, 0
	.section	.AMDGPU.csdata,"",@progbits
; Kernel info:
; codeLenInByte = 1876
; TotalNumSgprs: 14
; NumVgprs: 95
; ScratchSize: 0
; MemoryBound: 0
; FloatMode: 240
; IeeeMode: 1
; LDSByteSize: 2048 bytes/workgroup (compile time only)
; SGPRBlocks: 0
; VGPRBlocks: 11
; NumSGPRsForWavesPerEU: 14
; NumVGPRsForWavesPerEU: 95
; Occupancy: 16
; WaveLimiterHint : 1
; COMPUTE_PGM_RSRC2:SCRATCH_EN: 0
; COMPUTE_PGM_RSRC2:USER_SGPR: 2
; COMPUTE_PGM_RSRC2:TRAP_HANDLER: 0
; COMPUTE_PGM_RSRC2:TGID_X_EN: 1
; COMPUTE_PGM_RSRC2:TGID_Y_EN: 0
; COMPUTE_PGM_RSRC2:TGID_Z_EN: 0
; COMPUTE_PGM_RSRC2:TIDIG_COMP_CNT: 0
	.section	.text._Z6kernelI27subtract_right_partial_tileLj256ELj1ELb1EJPaPiS1_jEEvDpT3_,"axG",@progbits,_Z6kernelI27subtract_right_partial_tileLj256ELj1ELb1EJPaPiS1_jEEvDpT3_,comdat
	.protected	_Z6kernelI27subtract_right_partial_tileLj256ELj1ELb1EJPaPiS1_jEEvDpT3_ ; -- Begin function _Z6kernelI27subtract_right_partial_tileLj256ELj1ELb1EJPaPiS1_jEEvDpT3_
	.globl	_Z6kernelI27subtract_right_partial_tileLj256ELj1ELb1EJPaPiS1_jEEvDpT3_
	.p2align	8
	.type	_Z6kernelI27subtract_right_partial_tileLj256ELj1ELb1EJPaPiS1_jEEvDpT3_,@function
_Z6kernelI27subtract_right_partial_tileLj256ELj1ELb1EJPaPiS1_jEEvDpT3_: ; @_Z6kernelI27subtract_right_partial_tileLj256ELj1ELb1EJPaPiS1_jEEvDpT3_
; %bb.0:
	s_load_b128 s[8:11], s[0:1], 0x0
	s_lshl_b32 s4, ttmp9, 8
	s_mov_b32 s5, 0
	s_load_b96 s[0:2], s[0:1], 0x10
	s_mov_b32 s6, ttmp9
	s_mov_b32 s7, s5
	s_delay_alu instid0(SALU_CYCLE_1)
	s_lshl_b64 s[6:7], s[6:7], 2
	s_wait_kmcnt 0x0
	s_add_nc_u64 s[8:9], s[8:9], s[4:5]
	s_add_nc_u64 s[6:7], s[10:11], s[6:7]
	global_load_u8 v1, v0, s[8:9]
	s_cvt_f32_u32 s3, s2
	s_delay_alu instid0(SALU_CYCLE_3) | instskip(NEXT) | instid1(TRANS32_DEP_1)
	v_rcp_iflag_f32_e32 v2, s3
	v_readfirstlane_b32 s3, v2
	v_add_nc_u32_e32 v2, 1, v0
	s_mul_f32 s3, s3, 0x4f7ffffe
	s_wait_alu 0xfffe
	s_delay_alu instid0(SALU_CYCLE_2) | instskip(SKIP_2) | instid1(SALU_CYCLE_1)
	s_cvt_u32_f32 s8, s3
	s_sub_co_i32 s3, 0, s2
	s_wait_alu 0xfffe
	s_mul_i32 s3, s3, s8
	s_wait_alu 0xfffe
	s_mul_hi_u32 s9, s8, s3
	s_load_b32 s3, s[6:7], 0x0
	s_add_co_i32 s8, s8, s9
	s_delay_alu instid0(SALU_CYCLE_1) | instskip(NEXT) | instid1(SALU_CYCLE_1)
	s_lshr_b32 s6, s8, 24
	s_mul_i32 s7, s6, s2
	s_add_co_i32 s8, s6, 1
	s_sub_co_i32 s7, 0x100, s7
	s_delay_alu instid0(SALU_CYCLE_1)
	s_sub_co_i32 s9, s7, s2
	s_cmp_ge_u32 s7, s2
	s_cselect_b32 s6, s8, s6
	s_cselect_b32 s7, s9, s7
	s_add_co_i32 s8, s6, 1
	s_cmp_ge_u32 s7, s2
	s_cselect_b32 s6, s8, s6
	s_delay_alu instid0(SALU_CYCLE_1)
	s_add_co_i32 s6, s6, 1
	s_branch .LBB222_2
.LBB222_1:                              ;   in Loop: Header=BB222_2 Depth=1
	s_or_b32 exec_lo, exec_lo, s7
	s_add_co_i32 s3, s6, s3
	s_delay_alu instid0(VALU_DEP_1)
	v_add_nc_u16 v1, v3, v1
	s_add_co_i32 s2, s2, -1
	s_wait_alu 0xfffe
	s_and_b32 s3, s3, 0xff
	s_cmp_lg_u32 s2, 0
	s_wait_loadcnt 0x0
	s_barrier_signal -1
	s_barrier_wait -1
	global_inv scope:SCOPE_SE
	s_cbranch_scc0 .LBB222_4
.LBB222_2:                              ; =>This Inner Loop Header: Depth=1
	s_wait_loadcnt 0x0
	v_mov_b32_e32 v3, v1
	s_mov_b32 s7, exec_lo
	ds_store_b8 v0, v1 offset:256
	s_wait_dscnt 0x0
	s_barrier_signal -1
	s_barrier_wait -1
	global_inv scope:SCOPE_SE
	s_wait_kmcnt 0x0
	s_wait_alu 0xfffe
	v_cmpx_gt_u32_e64 s3, v2
	s_cbranch_execz .LBB222_1
; %bb.3:                                ;   in Loop: Header=BB222_2 Depth=1
	ds_load_u8 v3, v0 offset:257
	s_wait_dscnt 0x0
	v_sub_nc_u16 v3, v1, v3
	s_branch .LBB222_1
.LBB222_4:
	s_add_nc_u64 s[0:1], s[0:1], s[4:5]
	s_delay_alu instid0(SALU_CYCLE_1)
	v_add_co_u32 v2, s0, s0, v0
	s_wait_alu 0xf1ff
	v_add_co_ci_u32_e64 v3, null, s1, 0, s0
	global_store_b8 v[2:3], v1, off
	s_endpgm
	.section	.rodata,"a",@progbits
	.p2align	6, 0x0
	.amdhsa_kernel _Z6kernelI27subtract_right_partial_tileLj256ELj1ELb1EJPaPiS1_jEEvDpT3_
		.amdhsa_group_segment_fixed_size 512
		.amdhsa_private_segment_fixed_size 0
		.amdhsa_kernarg_size 28
		.amdhsa_user_sgpr_count 2
		.amdhsa_user_sgpr_dispatch_ptr 0
		.amdhsa_user_sgpr_queue_ptr 0
		.amdhsa_user_sgpr_kernarg_segment_ptr 1
		.amdhsa_user_sgpr_dispatch_id 0
		.amdhsa_user_sgpr_private_segment_size 0
		.amdhsa_wavefront_size32 1
		.amdhsa_uses_dynamic_stack 0
		.amdhsa_enable_private_segment 0
		.amdhsa_system_sgpr_workgroup_id_x 1
		.amdhsa_system_sgpr_workgroup_id_y 0
		.amdhsa_system_sgpr_workgroup_id_z 0
		.amdhsa_system_sgpr_workgroup_info 0
		.amdhsa_system_vgpr_workitem_id 0
		.amdhsa_next_free_vgpr 4
		.amdhsa_next_free_sgpr 12
		.amdhsa_reserve_vcc 0
		.amdhsa_float_round_mode_32 0
		.amdhsa_float_round_mode_16_64 0
		.amdhsa_float_denorm_mode_32 3
		.amdhsa_float_denorm_mode_16_64 3
		.amdhsa_fp16_overflow 0
		.amdhsa_workgroup_processor_mode 1
		.amdhsa_memory_ordered 1
		.amdhsa_forward_progress 1
		.amdhsa_inst_pref_size 4
		.amdhsa_round_robin_scheduling 0
		.amdhsa_exception_fp_ieee_invalid_op 0
		.amdhsa_exception_fp_denorm_src 0
		.amdhsa_exception_fp_ieee_div_zero 0
		.amdhsa_exception_fp_ieee_overflow 0
		.amdhsa_exception_fp_ieee_underflow 0
		.amdhsa_exception_fp_ieee_inexact 0
		.amdhsa_exception_int_div_zero 0
	.end_amdhsa_kernel
	.section	.text._Z6kernelI27subtract_right_partial_tileLj256ELj1ELb1EJPaPiS1_jEEvDpT3_,"axG",@progbits,_Z6kernelI27subtract_right_partial_tileLj256ELj1ELb1EJPaPiS1_jEEvDpT3_,comdat
.Lfunc_end222:
	.size	_Z6kernelI27subtract_right_partial_tileLj256ELj1ELb1EJPaPiS1_jEEvDpT3_, .Lfunc_end222-_Z6kernelI27subtract_right_partial_tileLj256ELj1ELb1EJPaPiS1_jEEvDpT3_
                                        ; -- End function
	.set _Z6kernelI27subtract_right_partial_tileLj256ELj1ELb1EJPaPiS1_jEEvDpT3_.num_vgpr, 4
	.set _Z6kernelI27subtract_right_partial_tileLj256ELj1ELb1EJPaPiS1_jEEvDpT3_.num_agpr, 0
	.set _Z6kernelI27subtract_right_partial_tileLj256ELj1ELb1EJPaPiS1_jEEvDpT3_.numbered_sgpr, 12
	.set _Z6kernelI27subtract_right_partial_tileLj256ELj1ELb1EJPaPiS1_jEEvDpT3_.num_named_barrier, 0
	.set _Z6kernelI27subtract_right_partial_tileLj256ELj1ELb1EJPaPiS1_jEEvDpT3_.private_seg_size, 0
	.set _Z6kernelI27subtract_right_partial_tileLj256ELj1ELb1EJPaPiS1_jEEvDpT3_.uses_vcc, 0
	.set _Z6kernelI27subtract_right_partial_tileLj256ELj1ELb1EJPaPiS1_jEEvDpT3_.uses_flat_scratch, 0
	.set _Z6kernelI27subtract_right_partial_tileLj256ELj1ELb1EJPaPiS1_jEEvDpT3_.has_dyn_sized_stack, 0
	.set _Z6kernelI27subtract_right_partial_tileLj256ELj1ELb1EJPaPiS1_jEEvDpT3_.has_recursion, 0
	.set _Z6kernelI27subtract_right_partial_tileLj256ELj1ELb1EJPaPiS1_jEEvDpT3_.has_indirect_call, 0
	.section	.AMDGPU.csdata,"",@progbits
; Kernel info:
; codeLenInByte = 404
; TotalNumSgprs: 12
; NumVgprs: 4
; ScratchSize: 0
; MemoryBound: 0
; FloatMode: 240
; IeeeMode: 1
; LDSByteSize: 512 bytes/workgroup (compile time only)
; SGPRBlocks: 0
; VGPRBlocks: 0
; NumSGPRsForWavesPerEU: 12
; NumVGPRsForWavesPerEU: 4
; Occupancy: 16
; WaveLimiterHint : 0
; COMPUTE_PGM_RSRC2:SCRATCH_EN: 0
; COMPUTE_PGM_RSRC2:USER_SGPR: 2
; COMPUTE_PGM_RSRC2:TRAP_HANDLER: 0
; COMPUTE_PGM_RSRC2:TGID_X_EN: 1
; COMPUTE_PGM_RSRC2:TGID_Y_EN: 0
; COMPUTE_PGM_RSRC2:TGID_Z_EN: 0
; COMPUTE_PGM_RSRC2:TIDIG_COMP_CNT: 0
	.section	.text._Z6kernelI27subtract_right_partial_tileLj256ELj3ELb1EJPaPiS1_jEEvDpT3_,"axG",@progbits,_Z6kernelI27subtract_right_partial_tileLj256ELj3ELb1EJPaPiS1_jEEvDpT3_,comdat
	.protected	_Z6kernelI27subtract_right_partial_tileLj256ELj3ELb1EJPaPiS1_jEEvDpT3_ ; -- Begin function _Z6kernelI27subtract_right_partial_tileLj256ELj3ELb1EJPaPiS1_jEEvDpT3_
	.globl	_Z6kernelI27subtract_right_partial_tileLj256ELj3ELb1EJPaPiS1_jEEvDpT3_
	.p2align	8
	.type	_Z6kernelI27subtract_right_partial_tileLj256ELj3ELb1EJPaPiS1_jEEvDpT3_,@function
_Z6kernelI27subtract_right_partial_tileLj256ELj3ELb1EJPaPiS1_jEEvDpT3_: ; @_Z6kernelI27subtract_right_partial_tileLj256ELj3ELb1EJPaPiS1_jEEvDpT3_
; %bb.0:
	s_load_b128 s[4:7], s[0:1], 0x0
	s_mul_i32 s8, ttmp9, 0x300
	s_mov_b32 s9, 0
	s_load_b96 s[0:2], s[0:1], 0x10
	s_mov_b32 s10, ttmp9
	s_mov_b32 s11, s9
	v_mov_b32_e32 v4, 0
	v_mad_u32_u24 v2, v0, 3, 2
	v_mad_u32_u24 v3, v0, 3, 3
	s_wait_kmcnt 0x0
	s_add_nc_u64 s[4:5], s[4:5], s[8:9]
	s_clause 0x2
	global_load_u8 v5, v0, s[4:5] offset:256
	global_load_u8 v6, v0, s[4:5] offset:512
	global_load_u8 v7, v0, s[4:5]
	s_cvt_f32_u32 s3, s2
	s_lshl_b64 s[4:5], s[10:11], 2
	s_sub_co_i32 s10, 0, s2
	s_add_nc_u64 s[4:5], s[6:7], s[4:5]
	v_rcp_iflag_f32_e32 v1, s3
	s_delay_alu instid0(TRANS32_DEP_1) | instskip(SKIP_3) | instid1(SALU_CYCLE_2)
	v_readfirstlane_b32 s3, v1
	v_mad_u32_u24 v1, v0, 3, 1
	s_mul_f32 s3, s3, 0x4f7ffffe
	s_wait_alu 0xfffe
	s_cvt_u32_f32 s3, s3
	s_wait_alu 0xfffe
	s_delay_alu instid0(SALU_CYCLE_2) | instskip(NEXT) | instid1(SALU_CYCLE_1)
	s_mul_i32 s10, s10, s3
	s_mul_hi_u32 s10, s3, s10
	s_delay_alu instid0(SALU_CYCLE_1) | instskip(SKIP_2) | instid1(SALU_CYCLE_1)
	s_add_co_i32 s6, s3, s10
	s_load_b32 s3, s[4:5], 0x0
	s_mul_hi_u32 s4, s6, 0x300
	s_mul_i32 s5, s4, s2
	s_add_co_i32 s6, s4, 1
	s_sub_co_i32 s5, 0x300, s5
	s_delay_alu instid0(SALU_CYCLE_1)
	s_sub_co_i32 s7, s5, s2
	s_cmp_ge_u32 s5, s2
	s_cselect_b32 s4, s6, s4
	s_cselect_b32 s5, s7, s5
	s_add_co_i32 s6, s4, 1
	s_cmp_ge_u32 s5, s2
	s_cselect_b32 s4, s6, s4
	s_delay_alu instid0(SALU_CYCLE_1) | instskip(SKIP_2) | instid1(VALU_DEP_1)
	s_add_co_i32 s4, s4, 1
	s_wait_loadcnt 0x0
	v_perm_b32 v5, v7, v5, 0xc0c0004
	v_lshl_or_b32 v5, v6, 16, v5
	v_mov_b32_e32 v6, 0
	s_branch .LBB223_2
.LBB223_1:                              ;   in Loop: Header=BB223_2 Depth=1
	s_or_b32 exec_lo, exec_lo, s5
	v_lshrrev_b16 v9, 8, v5
	s_delay_alu instid0(VALU_DEP_2)
	v_add_nc_u16 v7, v6, v7
	v_add_nc_u16 v5, v8, v5
	s_add_co_i32 s3, s4, s3
	s_add_co_i32 s2, s2, -1
	v_add_nc_u16 v9, v4, v9
	v_and_b32_e32 v8, 0xff, v7
	s_wait_alu 0xfffe
	s_mul_hi_u32 s5, s3, 0xaaaaaaab
	s_wait_loadcnt 0x0
	s_lshr_b32 s5, s5, 9
	v_lshlrev_b16 v9, 8, v9
	v_lshlrev_b32_e32 v8, 16, v8
	s_mulk_i32 s5, 0x300
	s_barrier_signal -1
	s_sub_co_i32 s3, s3, s5
	v_perm_b32 v5, v5, v9, 0xc0c0104
	s_cmp_lg_u32 s2, 0
	s_barrier_wait -1
	global_inv scope:SCOPE_SE
	v_or_b32_e32 v5, v5, v8
	s_cbranch_scc0 .LBB223_4
.LBB223_2:                              ; =>This Inner Loop Header: Depth=1
	s_delay_alu instid0(VALU_DEP_1)
	v_lshrrev_b32_e32 v8, 8, v5
	v_lshrrev_b32_e32 v7, 16, v5
	v_perm_b32 v10, v5, v4, 0xc0c0004
	s_wait_kmcnt 0x0
	s_wait_alu 0xfffe
	v_cmp_gt_u32_e32 vcc_lo, s3, v1
	v_and_b32_e32 v6, 0xff, v6
	v_sub_nc_u16 v9, v5, v8
	v_sub_nc_u16 v8, v8, v7
	s_mov_b32 s5, exec_lo
	ds_store_b8 v0, v5 offset:256
	v_lshlrev_b32_e32 v6, 16, v6
	v_perm_b32 v4, v9, v4, 0xc0c0004
	v_lshlrev_b16 v8, 8, v8
	s_wait_dscnt 0x0
	s_barrier_signal -1
	s_barrier_wait -1
	s_wait_alu 0xfffd
	v_cndmask_b32_e32 v4, v10, v4, vcc_lo
	v_cmp_gt_u32_e32 vcc_lo, s3, v2
	global_inv scope:SCOPE_SE
	v_and_b32_e32 v9, 0xff, v4
	v_or_b32_e32 v4, v4, v6
	s_delay_alu instid0(VALU_DEP_2) | instskip(NEXT) | instid1(VALU_DEP_2)
	v_or_b32_e32 v6, v9, v8
	v_perm_b32 v8, v4, v5, 0xc0c0104
	s_delay_alu instid0(VALU_DEP_2) | instskip(SKIP_1) | instid1(VALU_DEP_1)
	v_and_b32_e32 v6, 0xffff, v6
	s_wait_alu 0xfffd
	v_cndmask_b32_e32 v8, v8, v6, vcc_lo
	v_mov_b32_e32 v6, v7
	s_delay_alu instid0(VALU_DEP_2) | instskip(NEXT) | instid1(VALU_DEP_1)
	v_and_or_b32 v4, 0xff0000, v4, v8
	v_lshrrev_b32_e32 v4, 8, v4
	v_cmpx_gt_u32_e64 s3, v3
	s_cbranch_execz .LBB223_1
; %bb.3:                                ;   in Loop: Header=BB223_2 Depth=1
	ds_load_u8 v6, v0 offset:257
	s_wait_dscnt 0x0
	v_sub_nc_u16 v6, v7, v6
	s_branch .LBB223_1
.LBB223_4:
	s_add_nc_u64 s[0:1], s[0:1], s[8:9]
	s_delay_alu instid0(VALU_DEP_1)
	v_lshrrev_b32_e32 v2, 8, v5
	v_add_co_u32 v0, s0, s0, v0
	s_wait_alu 0xf1ff
	v_add_co_ci_u32_e64 v1, null, s1, 0, s0
	s_clause 0x2
	global_store_b8 v[0:1], v5, off
	global_store_b8 v[0:1], v2, off offset:256
	global_store_b8 v[0:1], v7, off offset:512
	s_endpgm
	.section	.rodata,"a",@progbits
	.p2align	6, 0x0
	.amdhsa_kernel _Z6kernelI27subtract_right_partial_tileLj256ELj3ELb1EJPaPiS1_jEEvDpT3_
		.amdhsa_group_segment_fixed_size 512
		.amdhsa_private_segment_fixed_size 0
		.amdhsa_kernarg_size 28
		.amdhsa_user_sgpr_count 2
		.amdhsa_user_sgpr_dispatch_ptr 0
		.amdhsa_user_sgpr_queue_ptr 0
		.amdhsa_user_sgpr_kernarg_segment_ptr 1
		.amdhsa_user_sgpr_dispatch_id 0
		.amdhsa_user_sgpr_private_segment_size 0
		.amdhsa_wavefront_size32 1
		.amdhsa_uses_dynamic_stack 0
		.amdhsa_enable_private_segment 0
		.amdhsa_system_sgpr_workgroup_id_x 1
		.amdhsa_system_sgpr_workgroup_id_y 0
		.amdhsa_system_sgpr_workgroup_id_z 0
		.amdhsa_system_sgpr_workgroup_info 0
		.amdhsa_system_vgpr_workitem_id 0
		.amdhsa_next_free_vgpr 11
		.amdhsa_next_free_sgpr 12
		.amdhsa_reserve_vcc 1
		.amdhsa_float_round_mode_32 0
		.amdhsa_float_round_mode_16_64 0
		.amdhsa_float_denorm_mode_32 3
		.amdhsa_float_denorm_mode_16_64 3
		.amdhsa_fp16_overflow 0
		.amdhsa_workgroup_processor_mode 1
		.amdhsa_memory_ordered 1
		.amdhsa_forward_progress 1
		.amdhsa_inst_pref_size 6
		.amdhsa_round_robin_scheduling 0
		.amdhsa_exception_fp_ieee_invalid_op 0
		.amdhsa_exception_fp_denorm_src 0
		.amdhsa_exception_fp_ieee_div_zero 0
		.amdhsa_exception_fp_ieee_overflow 0
		.amdhsa_exception_fp_ieee_underflow 0
		.amdhsa_exception_fp_ieee_inexact 0
		.amdhsa_exception_int_div_zero 0
	.end_amdhsa_kernel
	.section	.text._Z6kernelI27subtract_right_partial_tileLj256ELj3ELb1EJPaPiS1_jEEvDpT3_,"axG",@progbits,_Z6kernelI27subtract_right_partial_tileLj256ELj3ELb1EJPaPiS1_jEEvDpT3_,comdat
.Lfunc_end223:
	.size	_Z6kernelI27subtract_right_partial_tileLj256ELj3ELb1EJPaPiS1_jEEvDpT3_, .Lfunc_end223-_Z6kernelI27subtract_right_partial_tileLj256ELj3ELb1EJPaPiS1_jEEvDpT3_
                                        ; -- End function
	.set _Z6kernelI27subtract_right_partial_tileLj256ELj3ELb1EJPaPiS1_jEEvDpT3_.num_vgpr, 11
	.set _Z6kernelI27subtract_right_partial_tileLj256ELj3ELb1EJPaPiS1_jEEvDpT3_.num_agpr, 0
	.set _Z6kernelI27subtract_right_partial_tileLj256ELj3ELb1EJPaPiS1_jEEvDpT3_.numbered_sgpr, 12
	.set _Z6kernelI27subtract_right_partial_tileLj256ELj3ELb1EJPaPiS1_jEEvDpT3_.num_named_barrier, 0
	.set _Z6kernelI27subtract_right_partial_tileLj256ELj3ELb1EJPaPiS1_jEEvDpT3_.private_seg_size, 0
	.set _Z6kernelI27subtract_right_partial_tileLj256ELj3ELb1EJPaPiS1_jEEvDpT3_.uses_vcc, 1
	.set _Z6kernelI27subtract_right_partial_tileLj256ELj3ELb1EJPaPiS1_jEEvDpT3_.uses_flat_scratch, 0
	.set _Z6kernelI27subtract_right_partial_tileLj256ELj3ELb1EJPaPiS1_jEEvDpT3_.has_dyn_sized_stack, 0
	.set _Z6kernelI27subtract_right_partial_tileLj256ELj3ELb1EJPaPiS1_jEEvDpT3_.has_recursion, 0
	.set _Z6kernelI27subtract_right_partial_tileLj256ELj3ELb1EJPaPiS1_jEEvDpT3_.has_indirect_call, 0
	.section	.AMDGPU.csdata,"",@progbits
; Kernel info:
; codeLenInByte = 744
; TotalNumSgprs: 14
; NumVgprs: 11
; ScratchSize: 0
; MemoryBound: 0
; FloatMode: 240
; IeeeMode: 1
; LDSByteSize: 512 bytes/workgroup (compile time only)
; SGPRBlocks: 0
; VGPRBlocks: 1
; NumSGPRsForWavesPerEU: 14
; NumVGPRsForWavesPerEU: 11
; Occupancy: 16
; WaveLimiterHint : 1
; COMPUTE_PGM_RSRC2:SCRATCH_EN: 0
; COMPUTE_PGM_RSRC2:USER_SGPR: 2
; COMPUTE_PGM_RSRC2:TRAP_HANDLER: 0
; COMPUTE_PGM_RSRC2:TGID_X_EN: 1
; COMPUTE_PGM_RSRC2:TGID_Y_EN: 0
; COMPUTE_PGM_RSRC2:TGID_Z_EN: 0
; COMPUTE_PGM_RSRC2:TIDIG_COMP_CNT: 0
	.section	.text._Z6kernelI27subtract_right_partial_tileLj256ELj4ELb1EJPaPiS1_jEEvDpT3_,"axG",@progbits,_Z6kernelI27subtract_right_partial_tileLj256ELj4ELb1EJPaPiS1_jEEvDpT3_,comdat
	.protected	_Z6kernelI27subtract_right_partial_tileLj256ELj4ELb1EJPaPiS1_jEEvDpT3_ ; -- Begin function _Z6kernelI27subtract_right_partial_tileLj256ELj4ELb1EJPaPiS1_jEEvDpT3_
	.globl	_Z6kernelI27subtract_right_partial_tileLj256ELj4ELb1EJPaPiS1_jEEvDpT3_
	.p2align	8
	.type	_Z6kernelI27subtract_right_partial_tileLj256ELj4ELb1EJPaPiS1_jEEvDpT3_,@function
_Z6kernelI27subtract_right_partial_tileLj256ELj4ELb1EJPaPiS1_jEEvDpT3_: ; @_Z6kernelI27subtract_right_partial_tileLj256ELj4ELb1EJPaPiS1_jEEvDpT3_
; %bb.0:
	s_load_b128 s[4:7], s[0:1], 0x0
	s_lshl_b32 s8, ttmp9, 10
	s_mov_b32 s9, 0
	s_load_b96 s[0:2], s[0:1], 0x10
	s_mov_b32 s10, ttmp9
	s_mov_b32 s11, s9
	v_dual_mov_b32 v4, 0 :: v_dual_lshlrev_b32 v5, 2, v0
	v_mov_b32_e32 v6, 0
	s_delay_alu instid0(VALU_DEP_2)
	v_or_b32_e32 v2, 2, v5
	v_or_b32_e32 v3, 3, v5
	s_wait_kmcnt 0x0
	s_add_nc_u64 s[4:5], s[4:5], s[8:9]
	s_clause 0x3
	global_load_u8 v7, v0, s[4:5] offset:256
	global_load_u8 v8, v0, s[4:5] offset:512
	global_load_u8 v9, v0, s[4:5]
	global_load_u8 v10, v0, s[4:5] offset:768
	s_cvt_f32_u32 s3, s2
	s_lshl_b64 s[4:5], s[10:11], 2
	s_sub_co_i32 s10, 0, s2
	s_add_nc_u64 s[4:5], s[6:7], s[4:5]
	v_rcp_iflag_f32_e32 v1, s3
	s_delay_alu instid0(TRANS32_DEP_1) | instskip(SKIP_4) | instid1(SALU_CYCLE_2)
	v_readfirstlane_b32 s3, v1
	v_or_b32_e32 v1, 1, v5
	v_add_nc_u32_e32 v5, 4, v5
	s_mul_f32 s3, s3, 0x4f7ffffe
	s_wait_alu 0xfffe
	s_cvt_u32_f32 s3, s3
	s_wait_alu 0xfffe
	s_delay_alu instid0(SALU_CYCLE_2) | instskip(NEXT) | instid1(SALU_CYCLE_1)
	s_mul_i32 s10, s10, s3
	s_mul_hi_u32 s10, s3, s10
	s_delay_alu instid0(SALU_CYCLE_1) | instskip(SKIP_2) | instid1(SALU_CYCLE_1)
	s_add_co_i32 s6, s3, s10
	s_load_b32 s3, s[4:5], 0x0
	s_lshr_b32 s4, s6, 22
	s_mul_i32 s5, s4, s2
	s_add_co_i32 s6, s4, 1
	s_sub_co_i32 s5, 0x400, s5
	s_delay_alu instid0(SALU_CYCLE_1)
	s_sub_co_i32 s7, s5, s2
	s_cmp_ge_u32 s5, s2
	s_cselect_b32 s4, s6, s4
	s_cselect_b32 s5, s7, s5
	s_add_co_i32 s6, s4, 1
	s_cmp_ge_u32 s5, s2
	s_cselect_b32 s4, s6, s4
	s_delay_alu instid0(SALU_CYCLE_1) | instskip(SKIP_4) | instid1(VALU_DEP_1)
	s_add_co_i32 s4, s4, 1
	s_wait_loadcnt 0x1
	v_perm_b32 v7, v9, v7, 0xc0c0004
	s_wait_loadcnt 0x0
	v_perm_b32 v8, v8, v10, 0xc0c0004
	v_lshl_or_b32 v7, v8, 16, v7
	v_mov_b32_e32 v8, 0
	s_branch .LBB224_2
.LBB224_1:                              ;   in Loop: Header=BB224_2 Depth=1
	s_or_b32 exec_lo, exec_lo, s5
	v_lshrrev_b16 v12, 8, v7
	v_add_nc_u16 v7, v11, v7
	v_add_nc_u16 v9, v6, v9
	;; [unrolled: 1-line block ×3, first 2 shown]
	s_add_co_i32 s3, s4, s3
	v_add_nc_u16 v11, v4, v12
	v_and_b32_e32 v7, 0xff, v7
	v_and_b32_e32 v9, 0xff, v9
	v_lshlrev_b16 v10, 8, v10
	s_add_co_i32 s2, s2, -1
	v_lshlrev_b16 v11, 8, v11
	s_wait_alu 0xfffe
	s_and_b32 s3, s3, 0x3ff
	s_cmp_lg_u32 s2, 0
	v_or_b32_e32 v9, v9, v10
	s_wait_loadcnt 0x0
	v_or_b32_e32 v7, v7, v11
	s_barrier_signal -1
	s_barrier_wait -1
	v_lshlrev_b32_e32 v9, 16, v9
	global_inv scope:SCOPE_SE
	v_and_b32_e32 v7, 0xffff, v7
	s_delay_alu instid0(VALU_DEP_1)
	v_or_b32_e32 v7, v7, v9
	s_cbranch_scc0 .LBB224_4
.LBB224_2:                              ; =>This Inner Loop Header: Depth=1
	s_delay_alu instid0(VALU_DEP_1)
	v_lshrrev_b32_e32 v10, 8, v7
	v_lshrrev_b32_e32 v9, 16, v7
	v_perm_b32 v12, v7, v4, 0xc0c0004
	s_wait_kmcnt 0x0
	s_wait_alu 0xfffe
	v_cmp_gt_u32_e32 vcc_lo, s3, v1
	v_perm_b32 v6, v6, v8, 0xc0c0004
	v_sub_nc_u16 v11, v7, v10
	v_sub_nc_u16 v10, v10, v9
	s_mov_b32 s5, exec_lo
	ds_store_b8 v0, v7 offset:256
	s_wait_dscnt 0x0
	v_perm_b32 v4, v11, v4, 0xc0c0004
	v_lshlrev_b16 v8, 8, v10
	s_barrier_signal -1
	s_barrier_wait -1
	global_inv scope:SCOPE_SE
	s_wait_alu 0xfffd
	v_cndmask_b32_e32 v4, v12, v4, vcc_lo
	v_cmp_gt_u32_e32 vcc_lo, s3, v2
	s_delay_alu instid0(VALU_DEP_2) | instskip(SKIP_1) | instid1(VALU_DEP_2)
	v_and_b32_e32 v10, 0xff, v4
	v_lshl_or_b32 v4, v6, 16, v4
	v_or_b32_e32 v6, v10, v8
	s_delay_alu instid0(VALU_DEP_2) | instskip(SKIP_1) | instid1(VALU_DEP_3)
	v_perm_b32 v8, v4, v7, 0xc0c0104
	v_lshrrev_b32_e32 v10, 24, v7
	v_and_b32_e32 v6, 0xffff, v6
	s_wait_alu 0xfffd
	s_delay_alu instid0(VALU_DEP_1) | instskip(NEXT) | instid1(VALU_DEP_3)
	v_cndmask_b32_e32 v11, v8, v6, vcc_lo
	v_sub_nc_u16 v6, v9, v10
	v_cmp_gt_u32_e32 vcc_lo, s3, v3
	s_delay_alu instid0(VALU_DEP_3) | instskip(NEXT) | instid1(VALU_DEP_1)
	v_and_or_b32 v4, 0xffff0000, v4, v11
	v_perm_b32 v8, v7, v4, 0xc0c0306
	s_delay_alu instid0(VALU_DEP_4) | instskip(SKIP_1) | instid1(VALU_DEP_1)
	v_perm_b32 v6, v6, v4, 0xc0c0304
	s_wait_alu 0xfffd
	v_cndmask_b32_e32 v6, v8, v6, vcc_lo
	v_mov_b32_e32 v8, v10
	s_delay_alu instid0(VALU_DEP_2) | instskip(NEXT) | instid1(VALU_DEP_1)
	v_perm_b32 v4, v6, v4, 0x504010c
	v_lshrrev_b32_e32 v4, 8, v4
	v_cmpx_gt_u32_e64 s3, v5
	s_cbranch_execz .LBB224_1
; %bb.3:                                ;   in Loop: Header=BB224_2 Depth=1
	ds_load_u8 v8, v0 offset:257
	s_wait_dscnt 0x0
	v_sub_nc_u16 v8, v10, v8
	s_branch .LBB224_1
.LBB224_4:
	s_add_nc_u64 s[0:1], s[0:1], s[8:9]
	s_delay_alu instid0(VALU_DEP_1)
	v_lshrrev_b32_e32 v2, 8, v7
	v_add_co_u32 v0, s0, s0, v0
	s_wait_alu 0xf1ff
	v_add_co_ci_u32_e64 v1, null, s1, 0, s0
	v_lshrrev_b32_e32 v3, 24, v7
	s_clause 0x3
	global_store_b8 v[0:1], v7, off
	global_store_b8 v[0:1], v2, off offset:256
	global_store_d16_hi_b8 v[0:1], v7, off offset:512
	global_store_b8 v[0:1], v3, off offset:768
	s_endpgm
	.section	.rodata,"a",@progbits
	.p2align	6, 0x0
	.amdhsa_kernel _Z6kernelI27subtract_right_partial_tileLj256ELj4ELb1EJPaPiS1_jEEvDpT3_
		.amdhsa_group_segment_fixed_size 512
		.amdhsa_private_segment_fixed_size 0
		.amdhsa_kernarg_size 28
		.amdhsa_user_sgpr_count 2
		.amdhsa_user_sgpr_dispatch_ptr 0
		.amdhsa_user_sgpr_queue_ptr 0
		.amdhsa_user_sgpr_kernarg_segment_ptr 1
		.amdhsa_user_sgpr_dispatch_id 0
		.amdhsa_user_sgpr_private_segment_size 0
		.amdhsa_wavefront_size32 1
		.amdhsa_uses_dynamic_stack 0
		.amdhsa_enable_private_segment 0
		.amdhsa_system_sgpr_workgroup_id_x 1
		.amdhsa_system_sgpr_workgroup_id_y 0
		.amdhsa_system_sgpr_workgroup_id_z 0
		.amdhsa_system_sgpr_workgroup_info 0
		.amdhsa_system_vgpr_workitem_id 0
		.amdhsa_next_free_vgpr 13
		.amdhsa_next_free_sgpr 12
		.amdhsa_reserve_vcc 1
		.amdhsa_float_round_mode_32 0
		.amdhsa_float_round_mode_16_64 0
		.amdhsa_float_denorm_mode_32 3
		.amdhsa_float_denorm_mode_16_64 3
		.amdhsa_fp16_overflow 0
		.amdhsa_workgroup_processor_mode 1
		.amdhsa_memory_ordered 1
		.amdhsa_forward_progress 1
		.amdhsa_inst_pref_size 7
		.amdhsa_round_robin_scheduling 0
		.amdhsa_exception_fp_ieee_invalid_op 0
		.amdhsa_exception_fp_denorm_src 0
		.amdhsa_exception_fp_ieee_div_zero 0
		.amdhsa_exception_fp_ieee_overflow 0
		.amdhsa_exception_fp_ieee_underflow 0
		.amdhsa_exception_fp_ieee_inexact 0
		.amdhsa_exception_int_div_zero 0
	.end_amdhsa_kernel
	.section	.text._Z6kernelI27subtract_right_partial_tileLj256ELj4ELb1EJPaPiS1_jEEvDpT3_,"axG",@progbits,_Z6kernelI27subtract_right_partial_tileLj256ELj4ELb1EJPaPiS1_jEEvDpT3_,comdat
.Lfunc_end224:
	.size	_Z6kernelI27subtract_right_partial_tileLj256ELj4ELb1EJPaPiS1_jEEvDpT3_, .Lfunc_end224-_Z6kernelI27subtract_right_partial_tileLj256ELj4ELb1EJPaPiS1_jEEvDpT3_
                                        ; -- End function
	.set _Z6kernelI27subtract_right_partial_tileLj256ELj4ELb1EJPaPiS1_jEEvDpT3_.num_vgpr, 13
	.set _Z6kernelI27subtract_right_partial_tileLj256ELj4ELb1EJPaPiS1_jEEvDpT3_.num_agpr, 0
	.set _Z6kernelI27subtract_right_partial_tileLj256ELj4ELb1EJPaPiS1_jEEvDpT3_.numbered_sgpr, 12
	.set _Z6kernelI27subtract_right_partial_tileLj256ELj4ELb1EJPaPiS1_jEEvDpT3_.num_named_barrier, 0
	.set _Z6kernelI27subtract_right_partial_tileLj256ELj4ELb1EJPaPiS1_jEEvDpT3_.private_seg_size, 0
	.set _Z6kernelI27subtract_right_partial_tileLj256ELj4ELb1EJPaPiS1_jEEvDpT3_.uses_vcc, 1
	.set _Z6kernelI27subtract_right_partial_tileLj256ELj4ELb1EJPaPiS1_jEEvDpT3_.uses_flat_scratch, 0
	.set _Z6kernelI27subtract_right_partial_tileLj256ELj4ELb1EJPaPiS1_jEEvDpT3_.has_dyn_sized_stack, 0
	.set _Z6kernelI27subtract_right_partial_tileLj256ELj4ELb1EJPaPiS1_jEEvDpT3_.has_recursion, 0
	.set _Z6kernelI27subtract_right_partial_tileLj256ELj4ELb1EJPaPiS1_jEEvDpT3_.has_indirect_call, 0
	.section	.AMDGPU.csdata,"",@progbits
; Kernel info:
; codeLenInByte = 876
; TotalNumSgprs: 14
; NumVgprs: 13
; ScratchSize: 0
; MemoryBound: 0
; FloatMode: 240
; IeeeMode: 1
; LDSByteSize: 512 bytes/workgroup (compile time only)
; SGPRBlocks: 0
; VGPRBlocks: 1
; NumSGPRsForWavesPerEU: 14
; NumVGPRsForWavesPerEU: 13
; Occupancy: 16
; WaveLimiterHint : 1
; COMPUTE_PGM_RSRC2:SCRATCH_EN: 0
; COMPUTE_PGM_RSRC2:USER_SGPR: 2
; COMPUTE_PGM_RSRC2:TRAP_HANDLER: 0
; COMPUTE_PGM_RSRC2:TGID_X_EN: 1
; COMPUTE_PGM_RSRC2:TGID_Y_EN: 0
; COMPUTE_PGM_RSRC2:TGID_Z_EN: 0
; COMPUTE_PGM_RSRC2:TIDIG_COMP_CNT: 0
	.section	.text._Z6kernelI27subtract_right_partial_tileLj256ELj8ELb1EJPaPiS1_jEEvDpT3_,"axG",@progbits,_Z6kernelI27subtract_right_partial_tileLj256ELj8ELb1EJPaPiS1_jEEvDpT3_,comdat
	.protected	_Z6kernelI27subtract_right_partial_tileLj256ELj8ELb1EJPaPiS1_jEEvDpT3_ ; -- Begin function _Z6kernelI27subtract_right_partial_tileLj256ELj8ELb1EJPaPiS1_jEEvDpT3_
	.globl	_Z6kernelI27subtract_right_partial_tileLj256ELj8ELb1EJPaPiS1_jEEvDpT3_
	.p2align	8
	.type	_Z6kernelI27subtract_right_partial_tileLj256ELj8ELb1EJPaPiS1_jEEvDpT3_,@function
_Z6kernelI27subtract_right_partial_tileLj256ELj8ELb1EJPaPiS1_jEEvDpT3_: ; @_Z6kernelI27subtract_right_partial_tileLj256ELj8ELb1EJPaPiS1_jEEvDpT3_
; %bb.0:
	s_load_b128 s[4:7], s[0:1], 0x0
	s_lshl_b32 s8, ttmp9, 11
	s_mov_b32 s9, 0
	s_load_b96 s[0:2], s[0:1], 0x10
	s_mov_b32 s10, ttmp9
	s_mov_b32 s11, s9
	v_dual_mov_b32 v9, 0 :: v_dual_lshlrev_b32 v8, 3, v0
	s_delay_alu instid0(VALU_DEP_1)
	v_or_b32_e32 v2, 2, v8
	v_or_b32_e32 v3, 3, v8
	v_or_b32_e32 v4, 4, v8
	v_or_b32_e32 v5, 5, v8
	v_or_b32_e32 v6, 6, v8
	v_or_b32_e32 v7, 7, v8
	s_wait_kmcnt 0x0
	s_add_nc_u64 s[4:5], s[4:5], s[8:9]
	s_clause 0x7
	global_load_u8 v10, v0, s[4:5] offset:256
	global_load_u8 v11, v0, s[4:5] offset:1536
	;; [unrolled: 1-line block ×4, first 2 shown]
	global_load_u8 v14, v0, s[4:5]
	global_load_u8 v15, v0, s[4:5] offset:768
	global_load_u8 v16, v0, s[4:5] offset:1280
	;; [unrolled: 1-line block ×3, first 2 shown]
	s_cvt_f32_u32 s3, s2
	s_lshl_b64 s[4:5], s[10:11], 2
	s_sub_co_i32 s10, 0, s2
	s_add_nc_u64 s[4:5], s[6:7], s[4:5]
	v_rcp_iflag_f32_e32 v1, s3
	s_delay_alu instid0(TRANS32_DEP_1) | instskip(SKIP_4) | instid1(SALU_CYCLE_2)
	v_readfirstlane_b32 s3, v1
	v_or_b32_e32 v1, 1, v8
	v_add_nc_u32_e32 v8, 8, v8
	s_mul_f32 s3, s3, 0x4f7ffffe
	s_wait_alu 0xfffe
	s_cvt_u32_f32 s3, s3
	s_wait_alu 0xfffe
	s_delay_alu instid0(SALU_CYCLE_2) | instskip(NEXT) | instid1(SALU_CYCLE_1)
	s_mul_i32 s10, s10, s3
	s_mul_hi_u32 s10, s3, s10
	s_delay_alu instid0(SALU_CYCLE_1)
	s_add_co_i32 s3, s3, s10
	s_wait_alu 0xfffe
	s_lshr_b32 s10, s3, 21
	s_load_b32 s3, s[4:5], 0x0
	s_mul_i32 s6, s10, s2
	s_add_co_i32 s5, s10, 1
	s_sub_co_i32 s4, 0x800, s6
	s_delay_alu instid0(SALU_CYCLE_1)
	s_sub_co_i32 s6, s4, s2
	s_cmp_ge_u32 s4, s2
	s_cselect_b32 s5, s5, s10
	s_cselect_b32 s4, s6, s4
	s_add_co_i32 s6, s5, 1
	s_cmp_ge_u32 s4, s2
	s_cselect_b32 s4, s6, s5
	s_delay_alu instid0(SALU_CYCLE_1)
	s_add_co_i32 s4, s4, 1
	s_wait_loadcnt 0x3
	v_perm_b32 v10, v14, v10, 0xc0c0004
	s_wait_loadcnt 0x2
	v_perm_b32 v13, v13, v15, 0xc0c0004
	;; [unrolled: 2-line block ×4, first 2 shown]
	v_lshl_or_b32 v10, v13, 16, v10
	s_delay_alu instid0(VALU_DEP_2)
	v_lshl_or_b32 v11, v11, 16, v12
	v_mov_b32_e32 v12, 0
	s_branch .LBB225_2
.LBB225_1:                              ;   in Loop: Header=BB225_2 Depth=1
	s_or_b32 exec_lo, exec_lo, s5
	s_delay_alu instid0(VALU_DEP_1)
	v_lshrrev_b32_e32 v17, 24, v12
	v_lshrrev_b16 v18, 8, v10
	v_lshrrev_b16 v19, 8, v11
	;; [unrolled: 1-line block ×4, first 2 shown]
	v_add_nc_u16 v16, v17, v16
	v_lshrrev_b32_e32 v23, 16, v12
	v_add_nc_u16 v10, v9, v10
	v_add_nc_u16 v18, v20, v18
	;; [unrolled: 1-line block ×3, first 2 shown]
	v_lshlrev_b16 v20, 8, v16
	v_add_nc_u16 v16, v22, v19
	v_lshrrev_b32_e32 v21, 16, v9
	v_lshrrev_b32_e32 v17, 24, v9
	v_add_nc_u16 v14, v23, v14
	v_lshlrev_b16 v18, 8, v18
	v_and_b32_e32 v10, 0xff, v10
	v_lshlrev_b16 v16, 8, v16
	v_and_b32_e32 v11, 0xff, v11
	v_add_nc_u16 v15, v17, v15
	v_add_nc_u16 v13, v21, v13
	v_or_b32_e32 v10, v10, v18
	v_and_b32_e32 v14, 0xff, v14
	v_or_b32_e32 v11, v11, v16
	v_lshlrev_b16 v17, 8, v15
	v_and_b32_e32 v16, 0xff, v13
	v_and_b32_e32 v13, 0xffff, v10
	v_or_b32_e32 v15, v14, v20
	v_and_b32_e32 v14, 0xffff, v11
	v_lshrrev_b32_e32 v19, 8, v20
	v_or_b32_e32 v16, v16, v17
	v_lshrrev_b32_e32 v18, 8, v13
	v_lshrrev_b32_e32 v17, 8, v17
	;; [unrolled: 1-line block ×3, first 2 shown]
	v_and_b32_e32 v10, 0xff, v10
	v_and_b32_e32 v21, 0xff, v16
	v_lshlrev_b16 v18, 8, v18
	v_lshlrev_b16 v17, 8, v17
	v_and_b32_e32 v11, 0xff, v11
	v_lshlrev_b16 v20, 8, v20
	v_and_b32_e32 v22, 0xff, v15
	v_lshlrev_b16 v19, 8, v19
	v_or_b32_e32 v10, v10, v18
	v_or_b32_e32 v17, v21, v17
	;; [unrolled: 1-line block ×3, first 2 shown]
	s_add_co_i32 s3, s4, s3
	v_or_b32_e32 v18, v22, v19
	v_and_b32_e32 v10, 0xffff, v10
	v_lshlrev_b32_e32 v17, 16, v17
	v_and_b32_e32 v11, 0xffff, v11
	s_add_co_i32 s2, s2, -1
	v_lshlrev_b32_e32 v18, 16, v18
	s_wait_alu 0xfffe
	s_and_b32 s3, s3, 0x7ff
	v_or_b32_e32 v10, v10, v17
	s_cmp_lg_u32 s2, 0
	s_wait_loadcnt 0x0
	v_or_b32_e32 v11, v11, v18
	s_barrier_signal -1
	s_barrier_wait -1
	global_inv scope:SCOPE_SE
	s_cbranch_scc0 .LBB225_4
.LBB225_2:                              ; =>This Inner Loop Header: Depth=1
	s_delay_alu instid0(VALU_DEP_2)
	v_lshrrev_b32_e32 v15, 8, v11
	v_and_b32_e32 v14, 0xff, v11
	v_lshrrev_b32_e32 v16, 8, v10
	v_perm_b32 v19, v10, v9, 0xc0c0104
	s_wait_kmcnt 0x0
	s_wait_alu 0xfffe
	v_cmp_gt_u32_e32 vcc_lo, s3, v1
	v_sub_nc_u16 v13, v11, v15
	v_and_b32_e32 v17, 0xffffff00, v12
	v_sub_nc_u16 v20, v10, v16
	v_and_b32_e32 v12, 0xffff0000, v12
	s_mov_b32 s5, exec_lo
	v_and_b32_e32 v18, 0xff, v13
	v_or_b32_e32 v21, v14, v17
	v_lshrrev_b32_e32 v13, 16, v10
	v_lshrrev_b32_e32 v14, 16, v11
	ds_store_b8 v0, v10 offset:256
	v_or_b32_e32 v17, v18, v17
	v_perm_b32 v18, v20, v9, 0xc0c0104
	v_and_b32_e32 v20, 0xffff, v21
	v_sub_nc_u16 v16, v16, v13
	v_sub_nc_u16 v15, v15, v14
	s_wait_dscnt 0x0
	s_wait_alu 0xfffd
	v_cndmask_b32_e32 v18, v19, v18, vcc_lo
	v_or_b32_e32 v19, v20, v12
	v_cmp_gt_u32_e32 vcc_lo, s3, v5
	v_and_b32_e32 v17, 0xffff, v17
	v_lshlrev_b16 v16, 8, v16
	v_and_or_b32 v9, 0xffff0000, v9, v18
	s_barrier_signal -1
	s_barrier_wait -1
	v_or_b32_e32 v12, v17, v12
	global_inv scope:SCOPE_SE
	v_perm_b32 v20, v9, v10, 0xc0c0104
	s_wait_alu 0xfffd
	v_cndmask_b32_e32 v12, v19, v12, vcc_lo
	v_cmp_gt_u32_e32 vcc_lo, s3, v2
	v_and_b32_e32 v17, 0xff, v18
	s_delay_alu instid0(VALU_DEP_3) | instskip(SKIP_1) | instid1(VALU_DEP_3)
	v_and_b32_e32 v18, 0xff, v12
	v_and_b32_e32 v12, 0xffff0000, v12
	v_or_b32_e32 v16, v17, v16
	v_lshlrev_b16 v17, 8, v15
	v_lshrrev_b32_e32 v15, 24, v10
	s_delay_alu instid0(VALU_DEP_3) | instskip(NEXT) | instid1(VALU_DEP_3)
	v_and_b32_e32 v16, 0xffff, v16
	v_or_b32_e32 v17, v18, v17
	s_wait_alu 0xfffd
	s_delay_alu instid0(VALU_DEP_1) | instskip(SKIP_1) | instid1(VALU_DEP_2)
	v_dual_cndmask_b32 v16, v20, v16 :: v_dual_and_b32 v17, 0xffff, v17
	v_cmp_gt_u32_e32 vcc_lo, s3, v6
	v_and_or_b32 v9, 0xffff0000, v9, v16
	s_delay_alu instid0(VALU_DEP_3) | instskip(SKIP_2) | instid1(VALU_DEP_2)
	v_or_b32_e32 v17, v17, v12
	v_and_b32_e32 v19, 0xffffff00, v11
	v_sub_nc_u16 v16, v13, v15
	v_or_b32_e32 v18, v18, v19
	s_delay_alu instid0(VALU_DEP_2) | instskip(SKIP_1) | instid1(VALU_DEP_3)
	v_perm_b32 v19, v16, v9, 0xc0c0304
	v_lshrrev_b32_e32 v16, 24, v11
	v_and_b32_e32 v18, 0xffff, v18
	s_delay_alu instid0(VALU_DEP_2) | instskip(NEXT) | instid1(VALU_DEP_2)
	v_sub_nc_u16 v20, v14, v16
	v_or_b32_e32 v12, v18, v12
	v_perm_b32 v18, v10, v9, 0xc0c0306
	s_delay_alu instid0(VALU_DEP_3) | instskip(SKIP_1) | instid1(VALU_DEP_3)
	v_and_b32_e32 v20, 0xff, v20
	s_wait_alu 0xfffd
	v_cndmask_b32_e32 v12, v12, v17, vcc_lo
	v_cmp_gt_u32_e32 vcc_lo, s3, v3
	v_sub_nc_u16 v17, v15, v11
	s_wait_alu 0xfffd
	v_cndmask_b32_e32 v18, v18, v19, vcc_lo
	s_delay_alu instid0(VALU_DEP_2)
	v_lshlrev_b16 v17, 8, v17
	v_lshrrev_b32_e32 v19, 16, v12
	v_cmp_gt_u32_e32 vcc_lo, s3, v4
	v_and_b32_e32 v12, 0xffff, v12
	v_lshlrev_b32_e32 v22, 16, v18
	v_and_b32_e32 v18, 0xff, v18
	v_and_b32_e32 v19, 0xffffff00, v19
	s_delay_alu instid0(VALU_DEP_3) | instskip(NEXT) | instid1(VALU_DEP_3)
	v_and_or_b32 v9, 0xffff, v9, v22
	v_or_b32_e32 v17, v18, v17
	s_delay_alu instid0(VALU_DEP_2) | instskip(SKIP_1) | instid1(VALU_DEP_1)
	v_perm_b32 v18, v9, v10, 0xc0c0306
	s_wait_alu 0xfffd
	v_cndmask_b32_e32 v17, v18, v17, vcc_lo
	v_cmp_gt_u32_e32 vcc_lo, s3, v7
	v_and_b32_e32 v21, 0xff, v14
	s_delay_alu instid0(VALU_DEP_3) | instskip(NEXT) | instid1(VALU_DEP_2)
	v_lshlrev_b32_e32 v17, 16, v17
	v_or_b32_e32 v21, v21, v19
	v_or_b32_e32 v19, v20, v19
	s_delay_alu instid0(VALU_DEP_3) | instskip(NEXT) | instid1(VALU_DEP_3)
	v_and_or_b32 v9, 0xffff, v9, v17
	v_lshlrev_b32_e32 v20, 16, v21
	s_delay_alu instid0(VALU_DEP_3) | instskip(NEXT) | instid1(VALU_DEP_2)
	v_lshlrev_b32_e32 v19, 16, v19
	v_or_b32_e32 v18, v12, v20
	s_delay_alu instid0(VALU_DEP_2) | instskip(SKIP_1) | instid1(VALU_DEP_1)
	v_or_b32_e32 v12, v12, v19
	s_wait_alu 0xfffd
	v_cndmask_b32_e32 v12, v18, v12, vcc_lo
	s_delay_alu instid0(VALU_DEP_1)
	v_perm_b32 v12, v12, v11, 0x3060504
	v_cmpx_gt_u32_e64 s3, v8
	s_cbranch_execz .LBB225_1
; %bb.3:                                ;   in Loop: Header=BB225_2 Depth=1
	ds_load_u8 v17, v0 offset:257
	v_lshrrev_b32_e32 v18, 8, v12
	v_lshrrev_b32_e32 v19, 16, v12
	v_and_b32_e32 v12, 0xff, v12
	v_perm_b32 v9, v9, v9, 0x3020104
	s_delay_alu instid0(VALU_DEP_4) | instskip(NEXT) | instid1(VALU_DEP_4)
	v_lshlrev_b16 v18, 8, v18
	v_and_b32_e32 v19, 0xff, v19
	s_delay_alu instid0(VALU_DEP_2) | instskip(NEXT) | instid1(VALU_DEP_1)
	v_or_b32_e32 v12, v12, v18
	v_and_b32_e32 v12, 0xffff, v12
	s_wait_dscnt 0x0
	v_sub_nc_u16 v17, v16, v17
	s_delay_alu instid0(VALU_DEP_1) | instskip(NEXT) | instid1(VALU_DEP_1)
	v_lshlrev_b16 v17, 8, v17
	v_or_b32_e32 v17, v19, v17
	s_delay_alu instid0(VALU_DEP_1) | instskip(NEXT) | instid1(VALU_DEP_1)
	v_lshlrev_b32_e32 v17, 16, v17
	v_or_b32_e32 v12, v12, v17
	s_branch .LBB225_1
.LBB225_4:
	v_lshlrev_b32_e32 v2, 16, v16
	v_lshlrev_b32_e32 v1, 16, v15
	s_add_nc_u64 s[0:1], s[0:1], s[8:9]
	s_delay_alu instid0(SALU_CYCLE_1) | instskip(NEXT) | instid1(VALU_DEP_3)
	v_add_co_u32 v0, s0, s0, v0
	v_or_b32_e32 v2, v13, v2
	s_delay_alu instid0(VALU_DEP_3) | instskip(SKIP_2) | instid1(VALU_DEP_3)
	v_or_b32_e32 v3, v14, v1
	s_wait_alu 0xf1ff
	v_add_co_ci_u32_e64 v1, null, s1, 0, s0
	v_lshrrev_b32_e32 v4, 8, v2
	v_lshrrev_b32_e32 v5, 24, v2
	;; [unrolled: 1-line block ×4, first 2 shown]
	s_clause 0x7
	global_store_b8 v[0:1], v2, off
	global_store_b8 v[0:1], v4, off offset:256
	global_store_d16_hi_b8 v[0:1], v2, off offset:512
	global_store_b8 v[0:1], v5, off offset:768
	global_store_b8 v[0:1], v3, off offset:1024
	;; [unrolled: 1-line block ×3, first 2 shown]
	global_store_d16_hi_b8 v[0:1], v3, off offset:1536
	global_store_b8 v[0:1], v7, off offset:1792
	s_endpgm
	.section	.rodata,"a",@progbits
	.p2align	6, 0x0
	.amdhsa_kernel _Z6kernelI27subtract_right_partial_tileLj256ELj8ELb1EJPaPiS1_jEEvDpT3_
		.amdhsa_group_segment_fixed_size 512
		.amdhsa_private_segment_fixed_size 0
		.amdhsa_kernarg_size 28
		.amdhsa_user_sgpr_count 2
		.amdhsa_user_sgpr_dispatch_ptr 0
		.amdhsa_user_sgpr_queue_ptr 0
		.amdhsa_user_sgpr_kernarg_segment_ptr 1
		.amdhsa_user_sgpr_dispatch_id 0
		.amdhsa_user_sgpr_private_segment_size 0
		.amdhsa_wavefront_size32 1
		.amdhsa_uses_dynamic_stack 0
		.amdhsa_enable_private_segment 0
		.amdhsa_system_sgpr_workgroup_id_x 1
		.amdhsa_system_sgpr_workgroup_id_y 0
		.amdhsa_system_sgpr_workgroup_id_z 0
		.amdhsa_system_sgpr_workgroup_info 0
		.amdhsa_system_vgpr_workitem_id 0
		.amdhsa_next_free_vgpr 24
		.amdhsa_next_free_sgpr 12
		.amdhsa_reserve_vcc 1
		.amdhsa_float_round_mode_32 0
		.amdhsa_float_round_mode_16_64 0
		.amdhsa_float_denorm_mode_32 3
		.amdhsa_float_denorm_mode_16_64 3
		.amdhsa_fp16_overflow 0
		.amdhsa_workgroup_processor_mode 1
		.amdhsa_memory_ordered 1
		.amdhsa_forward_progress 1
		.amdhsa_inst_pref_size 14
		.amdhsa_round_robin_scheduling 0
		.amdhsa_exception_fp_ieee_invalid_op 0
		.amdhsa_exception_fp_denorm_src 0
		.amdhsa_exception_fp_ieee_div_zero 0
		.amdhsa_exception_fp_ieee_overflow 0
		.amdhsa_exception_fp_ieee_underflow 0
		.amdhsa_exception_fp_ieee_inexact 0
		.amdhsa_exception_int_div_zero 0
	.end_amdhsa_kernel
	.section	.text._Z6kernelI27subtract_right_partial_tileLj256ELj8ELb1EJPaPiS1_jEEvDpT3_,"axG",@progbits,_Z6kernelI27subtract_right_partial_tileLj256ELj8ELb1EJPaPiS1_jEEvDpT3_,comdat
.Lfunc_end225:
	.size	_Z6kernelI27subtract_right_partial_tileLj256ELj8ELb1EJPaPiS1_jEEvDpT3_, .Lfunc_end225-_Z6kernelI27subtract_right_partial_tileLj256ELj8ELb1EJPaPiS1_jEEvDpT3_
                                        ; -- End function
	.set _Z6kernelI27subtract_right_partial_tileLj256ELj8ELb1EJPaPiS1_jEEvDpT3_.num_vgpr, 24
	.set _Z6kernelI27subtract_right_partial_tileLj256ELj8ELb1EJPaPiS1_jEEvDpT3_.num_agpr, 0
	.set _Z6kernelI27subtract_right_partial_tileLj256ELj8ELb1EJPaPiS1_jEEvDpT3_.numbered_sgpr, 12
	.set _Z6kernelI27subtract_right_partial_tileLj256ELj8ELb1EJPaPiS1_jEEvDpT3_.num_named_barrier, 0
	.set _Z6kernelI27subtract_right_partial_tileLj256ELj8ELb1EJPaPiS1_jEEvDpT3_.private_seg_size, 0
	.set _Z6kernelI27subtract_right_partial_tileLj256ELj8ELb1EJPaPiS1_jEEvDpT3_.uses_vcc, 1
	.set _Z6kernelI27subtract_right_partial_tileLj256ELj8ELb1EJPaPiS1_jEEvDpT3_.uses_flat_scratch, 0
	.set _Z6kernelI27subtract_right_partial_tileLj256ELj8ELb1EJPaPiS1_jEEvDpT3_.has_dyn_sized_stack, 0
	.set _Z6kernelI27subtract_right_partial_tileLj256ELj8ELb1EJPaPiS1_jEEvDpT3_.has_recursion, 0
	.set _Z6kernelI27subtract_right_partial_tileLj256ELj8ELb1EJPaPiS1_jEEvDpT3_.has_indirect_call, 0
	.section	.AMDGPU.csdata,"",@progbits
; Kernel info:
; codeLenInByte = 1756
; TotalNumSgprs: 14
; NumVgprs: 24
; ScratchSize: 0
; MemoryBound: 0
; FloatMode: 240
; IeeeMode: 1
; LDSByteSize: 512 bytes/workgroup (compile time only)
; SGPRBlocks: 0
; VGPRBlocks: 2
; NumSGPRsForWavesPerEU: 14
; NumVGPRsForWavesPerEU: 24
; Occupancy: 16
; WaveLimiterHint : 1
; COMPUTE_PGM_RSRC2:SCRATCH_EN: 0
; COMPUTE_PGM_RSRC2:USER_SGPR: 2
; COMPUTE_PGM_RSRC2:TRAP_HANDLER: 0
; COMPUTE_PGM_RSRC2:TGID_X_EN: 1
; COMPUTE_PGM_RSRC2:TGID_Y_EN: 0
; COMPUTE_PGM_RSRC2:TGID_Z_EN: 0
; COMPUTE_PGM_RSRC2:TIDIG_COMP_CNT: 0
	.section	.text._Z6kernelI27subtract_right_partial_tileLj256ELj16ELb1EJPaPiS1_jEEvDpT3_,"axG",@progbits,_Z6kernelI27subtract_right_partial_tileLj256ELj16ELb1EJPaPiS1_jEEvDpT3_,comdat
	.protected	_Z6kernelI27subtract_right_partial_tileLj256ELj16ELb1EJPaPiS1_jEEvDpT3_ ; -- Begin function _Z6kernelI27subtract_right_partial_tileLj256ELj16ELb1EJPaPiS1_jEEvDpT3_
	.globl	_Z6kernelI27subtract_right_partial_tileLj256ELj16ELb1EJPaPiS1_jEEvDpT3_
	.p2align	8
	.type	_Z6kernelI27subtract_right_partial_tileLj256ELj16ELb1EJPaPiS1_jEEvDpT3_,@function
_Z6kernelI27subtract_right_partial_tileLj256ELj16ELb1EJPaPiS1_jEEvDpT3_: ; @_Z6kernelI27subtract_right_partial_tileLj256ELj16ELb1EJPaPiS1_jEEvDpT3_
; %bb.0:
	s_load_b128 s[4:7], s[0:1], 0x0
	s_lshl_b32 s8, ttmp9, 12
	s_mov_b32 s9, 0
	s_load_b96 s[0:2], s[0:1], 0x10
	s_mov_b32 s10, ttmp9
	s_mov_b32 s11, s9
	v_dual_mov_b32 v25, 0 :: v_dual_lshlrev_b32 v16, 4, v0
	v_dual_mov_b32 v24, 0 :: v_dual_mov_b32 v17, 0
	s_delay_alu instid0(VALU_DEP_2)
	v_or_b32_e32 v1, 1, v16
	v_or_b32_e32 v2, 2, v16
	;; [unrolled: 1-line block ×8, first 2 shown]
	s_wait_kmcnt 0x0
	s_add_nc_u64 s[4:5], s[4:5], s[8:9]
	v_or_b32_e32 v10, 10, v16
	s_clause 0xf
	global_load_u8 v18, v0, s[4:5] offset:256
	global_load_u8 v19, v0, s[4:5] offset:768
	;; [unrolled: 1-line block ×7, first 2 shown]
	global_load_u8 v27, v0, s[4:5]
	global_load_u8 v28, v0, s[4:5] offset:2304
	global_load_u8 v29, v0, s[4:5] offset:3584
	;; [unrolled: 1-line block ×8, first 2 shown]
	s_cvt_f32_u32 s3, s2
	s_lshl_b64 s[4:5], s[10:11], 2
	s_sub_co_i32 s10, 0, s2
	s_add_nc_u64 s[4:5], s[6:7], s[4:5]
	v_rcp_iflag_f32_e32 v5, s3
	v_or_b32_e32 v11, 11, v16
	v_or_b32_e32 v12, 12, v16
	;; [unrolled: 1-line block ×5, first 2 shown]
	s_delay_alu instid0(TRANS32_DEP_1) | instskip(SKIP_4) | instid1(SALU_CYCLE_2)
	v_readfirstlane_b32 s3, v5
	v_or_b32_e32 v5, 5, v16
	v_add_nc_u32_e32 v16, 16, v16
	s_mul_f32 s3, s3, 0x4f7ffffe
	s_wait_alu 0xfffe
	s_cvt_u32_f32 s3, s3
	s_wait_alu 0xfffe
	s_delay_alu instid0(SALU_CYCLE_2) | instskip(NEXT) | instid1(SALU_CYCLE_1)
	s_mul_i32 s10, s10, s3
	s_mul_hi_u32 s10, s3, s10
	s_delay_alu instid0(SALU_CYCLE_1) | instskip(SKIP_2) | instid1(SALU_CYCLE_1)
	s_add_co_i32 s3, s3, s10
	s_wait_alu 0xfffe
	s_lshr_b32 s10, s3, 20
	s_mul_i32 s3, s10, s2
	s_add_co_i32 s7, s10, 1
	s_wait_alu 0xfffe
	s_sub_co_i32 s6, 0x1000, s3
	s_load_b32 s3, s[4:5], 0x0
	s_sub_co_i32 s11, s6, s2
	s_cmp_ge_u32 s6, s2
	s_cselect_b32 s4, s7, s10
	s_cselect_b32 s5, s11, s6
	s_add_co_i32 s6, s4, 1
	s_cmp_ge_u32 s5, s2
	s_cselect_b32 s4, s6, s4
	s_delay_alu instid0(SALU_CYCLE_1)
	s_add_co_i32 s4, s4, 1
	s_wait_loadcnt 0xb
	v_perm_b32 v21, v22, v21, 0xc0c0004
	s_wait_loadcnt 0xa
	v_perm_b32 v20, v23, v20, 0xc0c0004
	;; [unrolled: 2-line block ×8, first 2 shown]
	v_lshl_or_b32 v18, v19, 16, v18
	v_lshl_or_b32 v19, v21, 16, v20
	;; [unrolled: 1-line block ×3, first 2 shown]
	v_mov_b32_e32 v20, 0
	v_lshl_or_b32 v23, v27, 16, v26
	s_branch .LBB226_2
.LBB226_1:                              ;   in Loop: Header=BB226_2 Depth=1
	s_or_b32 exec_lo, exec_lo, s5
	s_delay_alu instid0(VALU_DEP_1)
	v_lshrrev_b32_e32 v40, 24, v17
	v_lshrrev_b32_e32 v43, 16, v17
	;; [unrolled: 1-line block ×3, first 2 shown]
	v_lshrrev_b16 v35, 8, v19
	v_lshrrev_b16 v36, 8, v23
	v_add_nc_u16 v32, v40, v32
	v_add_nc_u16 v29, v43, v29
	v_lshrrev_b16 v41, 8, v24
	v_lshrrev_b16 v40, 8, v20
	v_add_nc_u16 v30, v45, v30
	v_lshlrev_b16 v32, 8, v32
	v_and_b32_e32 v29, 0xff, v29
	v_lshrrev_b16 v34, 8, v18
	v_lshrrev_b16 v31, 8, v21
	v_lshrrev_b16 v37, 8, v25
	v_lshrrev_b16 v44, 8, v17
	v_lshrrev_b32_e32 v43, 24, v20
	v_add_nc_u16 v36, v40, v36
	v_add_nc_u16 v23, v20, v23
	v_and_b32_e32 v40, 0xff, v30
	v_or_b32_e32 v30, v29, v32
	v_add_nc_u16 v32, v41, v35
	v_add_nc_u16 v19, v24, v19
	v_lshrrev_b32_e32 v38, 16, v25
	v_lshrrev_b32_e32 v39, 24, v25
	v_add_nc_u16 v33, v43, v33
	v_lshlrev_b16 v36, 8, v36
	v_and_b32_e32 v23, 0xff, v23
	v_add_nc_u16 v31, v44, v31
	v_add_nc_u16 v21, v17, v21
	v_lshrrev_b32_e32 v43, 24, v24
	v_lshlrev_b16 v32, 8, v32
	v_and_b32_e32 v19, 0xff, v19
	v_add_nc_u16 v34, v37, v34
	v_add_nc_u16 v18, v25, v18
	v_lshrrev_b32_e32 v42, 16, v24
	v_or_b32_e32 v23, v23, v36
	v_lshlrev_b16 v36, 8, v31
	v_and_b32_e32 v21, 0xff, v21
	v_add_nc_u16 v28, v43, v28
	v_or_b32_e32 v19, v19, v32
	v_add_nc_u16 v26, v39, v26
	v_add_nc_u16 v32, v38, v22
	v_lshlrev_b16 v34, 8, v34
	v_and_b32_e32 v18, 0xff, v18
	v_or_b32_e32 v21, v21, v36
	v_add_nc_u16 v35, v42, v27
	v_lshlrev_b16 v28, 8, v28
	v_and_b32_e32 v22, 0xffff, v19
	v_lshlrev_b16 v36, 8, v26
	v_and_b32_e32 v26, 0xff, v32
	v_or_b32_e32 v18, v18, v34
	v_lshlrev_b16 v33, 8, v33
	v_and_b32_e32 v29, 0xffff, v23
	v_and_b32_e32 v35, 0xff, v35
	v_lshrrev_b32_e32 v37, 8, v28
	v_lshrrev_b32_e32 v34, 8, v22
	v_or_b32_e32 v32, v26, v36
	v_and_b32_e32 v26, 0xffff, v18
	v_or_b32_e32 v31, v40, v33
	v_or_b32_e32 v28, v35, v28
	v_lshlrev_b16 v35, 8, v37
	v_lshrrev_b32_e32 v37, 8, v29
	v_lshlrev_b16 v34, 8, v34
	v_lshrrev_b32_e32 v33, 8, v33
	v_lshrrev_b32_e32 v40, 8, v26
	v_and_b32_e32 v18, 0xff, v18
	v_lshrrev_b32_e32 v36, 8, v36
	v_lshrrev_b32_e32 v34, 8, v34
	v_lshlrev_b16 v33, 8, v33
	v_lshlrev_b16 v40, 8, v40
	;; [unrolled: 1-line block ×3, first 2 shown]
	v_and_b32_e32 v27, 0xffff, v21
	v_lshrrev_b32_e32 v35, 8, v35
	v_lshrrev_b32_e32 v33, 8, v33
	v_or_b32_e32 v18, v18, v40
	v_and_b32_e32 v40, 0xff, v32
	v_lshlrev_b16 v36, 8, v36
	v_and_b32_e32 v19, 0xff, v19
	v_lshlrev_b16 v34, 8, v34
	v_lshrrev_b32_e32 v37, 8, v37
	v_lshrrev_b32_e32 v38, 8, v30
	;; [unrolled: 1-line block ×3, first 2 shown]
	v_or_b32_e32 v36, v40, v36
	v_or_b32_e32 v19, v19, v34
	v_and_b32_e32 v34, 0xff, v28
	v_lshlrev_b16 v35, 8, v35
	v_and_b32_e32 v23, 0xff, v23
	v_lshlrev_b16 v37, 8, v37
	;; [unrolled: 2-line block ×3, first 2 shown]
	v_lshlrev_b16 v38, 8, v38
	v_lshlrev_b16 v39, 8, v39
	v_or_b32_e32 v34, v34, v35
	v_or_b32_e32 v23, v23, v37
	;; [unrolled: 1-line block ×3, first 2 shown]
	v_and_b32_e32 v18, 0xffff, v18
	v_lshlrev_b32_e32 v35, 16, v36
	v_and_b32_e32 v19, 0xffff, v19
	v_lshlrev_b32_e32 v34, 16, v34
	v_perm_b32 v36, v30, v38, 0xc0c0104
	v_perm_b32 v21, v21, v39, 0xc0c0104
	v_and_b32_e32 v23, 0xffff, v23
	v_lshlrev_b32_e32 v33, 16, v33
	s_add_co_i32 s3, s4, s3
	v_or_b32_e32 v18, v18, v35
	v_or_b32_e32 v19, v19, v34
	v_lshl_or_b32 v21, v36, 16, v21
	v_or_b32_e32 v23, v23, v33
	s_add_co_i32 s2, s2, -1
	s_wait_alu 0xfffe
	s_and_b32 s3, s3, 0xfff
	s_cmp_lg_u32 s2, 0
	s_wait_loadcnt 0x0
	s_barrier_signal -1
	s_barrier_wait -1
	global_inv scope:SCOPE_SE
	s_cbranch_scc0 .LBB226_4
.LBB226_2:                              ; =>This Inner Loop Header: Depth=1
	v_lshrrev_b32_e32 v26, 8, v18
	v_lshrrev_b32_e32 v28, 8, v19
	;; [unrolled: 1-line block ×3, first 2 shown]
	v_perm_b32 v31, v18, v25, 0xc0c0104
	s_wait_kmcnt 0x0
	s_wait_alu 0xfffe
	v_cmp_gt_u32_e32 vcc_lo, s3, v1
	v_sub_nc_u16 v27, v18, v26
	v_sub_nc_u16 v29, v19, v28
	v_and_b32_e32 v30, 0xff, v19
	v_sub_nc_u16 v26, v26, v22
	v_lshrrev_b32_e32 v34, 8, v21
	v_perm_b32 v27, v27, v25, 0xc0c0104
	v_and_b32_e32 v32, 0xffffff00, v24
	v_and_b32_e32 v36, 0xffffff00, v20
	v_lshlrev_b16 v26, 8, v26
	v_sub_nc_u16 v38, v21, v34
	s_wait_alu 0xfffd
	v_cndmask_b32_e32 v31, v31, v27, vcc_lo
	v_or_b32_e32 v27, v30, v32
	v_cmp_gt_u32_e32 vcc_lo, s3, v5
	v_and_b32_e32 v29, 0xff, v29
	v_perm_b32 v38, v38, v17, 0xc0c0104
	v_and_b32_e32 v30, 0xff, v31
	v_and_or_b32 v25, 0xffff0000, v25, v31
	v_and_b32_e32 v20, 0xffff0000, v20
	v_or_b32_e32 v29, v29, v32
	v_and_b32_e32 v32, 0xffff, v27
	v_or_b32_e32 v26, v30, v26
	v_lshrrev_b32_e32 v27, 16, v19
	s_mov_b32 s5, exec_lo
	v_and_b32_e32 v29, 0xffff, v29
	ds_store_b8 v0, v18 offset:256
	v_and_b32_e32 v31, 0xffff, v26
	v_and_b32_e32 v24, 0xffff0000, v24
	v_sub_nc_u16 v28, v28, v27
	v_lshrrev_b32_e32 v26, 24, v18
	v_and_b32_e32 v35, 0xff, v27
	s_wait_dscnt 0x0
	v_or_b32_e32 v30, v32, v24
	v_or_b32_e32 v24, v29, v24
	v_perm_b32 v29, v25, v18, 0xc0c0104
	v_lshlrev_b16 v28, 8, v28
	s_barrier_signal -1
	s_barrier_wait -1
	s_wait_alu 0xfffd
	v_cndmask_b32_e32 v24, v30, v24, vcc_lo
	v_cmp_gt_u32_e32 vcc_lo, s3, v2
	global_inv scope:SCOPE_SE
	s_wait_alu 0xfffd
	v_dual_cndmask_b32 v29, v29, v31 :: v_dual_and_b32 v30, 0xff, v24
	v_and_b32_e32 v31, 0xffffff00, v19
	v_and_b32_e32 v24, 0xffff0000, v24
	v_cmp_gt_u32_e32 vcc_lo, s3, v3
	s_delay_alu instid0(VALU_DEP_4) | instskip(SKIP_3) | instid1(VALU_DEP_4)
	v_or_b32_e32 v28, v30, v28
	v_and_or_b32 v25, 0xffff0000, v25, v29
	v_sub_nc_u16 v29, v22, v26
	v_or_b32_e32 v30, v30, v31
	v_and_b32_e32 v32, 0xffff, v28
	s_delay_alu instid0(VALU_DEP_4) | instskip(NEXT) | instid1(VALU_DEP_4)
	v_perm_b32 v31, v18, v25, 0xc0c0306
	v_perm_b32 v29, v29, v25, 0xc0c0304
	s_delay_alu instid0(VALU_DEP_4) | instskip(SKIP_2) | instid1(VALU_DEP_3)
	v_and_b32_e32 v30, 0xffff, v30
	v_lshrrev_b32_e32 v28, 24, v19
	s_wait_alu 0xfffd
	v_cndmask_b32_e32 v29, v31, v29, vcc_lo
	v_or_b32_e32 v31, v32, v24
	v_or_b32_e32 v24, v30, v24
	v_cmp_gt_u32_e32 vcc_lo, s3, v6
	v_sub_nc_u16 v30, v26, v19
	v_lshlrev_b32_e32 v33, 16, v29
	v_and_b32_e32 v29, 0xff, v29
	v_lshrrev_b32_e32 v32, 8, v23
	s_wait_alu 0xfffd
	v_cndmask_b32_e32 v24, v24, v31, vcc_lo
	v_lshlrev_b16 v30, 8, v30
	v_and_or_b32 v25, 0xffff, v25, v33
	v_sub_nc_u16 v33, v27, v28
	v_cmp_gt_u32_e32 vcc_lo, s3, v4
	v_lshrrev_b32_e32 v31, 16, v24
	v_or_b32_e32 v29, v29, v30
	v_perm_b32 v30, v25, v18, 0xc0c0306
	v_and_b32_e32 v33, 0xff, v33
	v_and_b32_e32 v24, 0xffff, v24
	;; [unrolled: 1-line block ×3, first 2 shown]
	v_sub_nc_u16 v37, v23, v32
	s_wait_alu 0xfffd
	v_cndmask_b32_e32 v29, v30, v29, vcc_lo
	v_cmp_gt_u32_e32 vcc_lo, s3, v9
	v_or_b32_e32 v30, v35, v31
	v_or_b32_e32 v31, v33, v31
	s_delay_alu instid0(VALU_DEP_4) | instskip(SKIP_1) | instid1(VALU_DEP_4)
	v_lshlrev_b32_e32 v29, 16, v29
	v_and_b32_e32 v33, 0xffffff00, v27
	v_lshlrev_b32_e32 v30, 16, v30
	s_delay_alu instid0(VALU_DEP_4) | instskip(NEXT) | instid1(VALU_DEP_4)
	v_lshlrev_b32_e32 v35, 16, v31
	v_and_or_b32 v31, 0xffff, v25, v29
	v_lshrrev_b32_e32 v29, 16, v21
	s_delay_alu instid0(VALU_DEP_4) | instskip(NEXT) | instid1(VALU_DEP_4)
	v_or_b32_e32 v25, v24, v30
	v_or_b32_e32 v24, v24, v35
	v_and_b32_e32 v30, 0xff, v37
	v_and_b32_e32 v35, 0xff, v23
	v_perm_b32 v37, v21, v17, 0xc0c0104
	v_sub_nc_u16 v34, v34, v29
	s_delay_alu instid0(VALU_DEP_4) | instskip(NEXT) | instid1(VALU_DEP_4)
	v_or_b32_e32 v30, v30, v36
	v_or_b32_e32 v35, v35, v36
	s_wait_alu 0xfffd
	v_cndmask_b32_e32 v36, v37, v38, vcc_lo
	v_cmp_gt_u32_e32 vcc_lo, s3, v7
	v_lshlrev_b16 v34, 8, v34
	v_and_b32_e32 v30, 0xffff, v30
	v_and_b32_e32 v35, 0xffff, v35
	v_and_or_b32 v17, 0xffff0000, v17, v36
	s_wait_alu 0xfffd
	v_cndmask_b32_e32 v24, v25, v24, vcc_lo
	v_and_b32_e32 v25, 0xff, v36
	v_or_b32_e32 v37, v30, v20
	v_or_b32_e32 v20, v35, v20
	v_lshrrev_b32_e32 v30, 16, v23
	v_cmp_gt_u32_e32 vcc_lo, s3, v13
	v_or_b32_e32 v25, v25, v34
	v_perm_b32 v34, v17, v21, 0xc0c0104
	v_and_b32_e32 v35, 0xffffff00, v23
	v_sub_nc_u16 v32, v32, v30
	s_wait_alu 0xfffd
	v_cndmask_b32_e32 v20, v20, v37, vcc_lo
	v_and_b32_e32 v25, 0xffff, v25
	v_cmp_gt_u32_e32 vcc_lo, s3, v10
	v_and_b32_e32 v40, 0xff, v30
	v_lshlrev_b16 v37, 8, v32
	v_and_b32_e32 v36, 0xff, v20
	v_lshrrev_b32_e32 v32, 24, v21
	s_wait_alu 0xfffd
	v_cndmask_b32_e32 v25, v34, v25, vcc_lo
	v_lshrrev_b32_e32 v34, 16, v24
	v_and_b32_e32 v20, 0xffff0000, v20
	v_or_b32_e32 v37, v36, v37
	v_or_b32_e32 v35, v36, v35
	v_and_or_b32 v17, 0xffff0000, v17, v25
	v_sub_nc_u16 v25, v29, v32
	v_cmp_gt_u32_e32 vcc_lo, s3, v11
	v_and_b32_e32 v36, 0xffff, v37
	v_and_b32_e32 v35, 0xffff, v35
	v_perm_b32 v37, v21, v17, 0xc0c0306
	v_perm_b32 v25, v25, v17, 0xc0c0304
	v_and_b32_e32 v34, 0xff, v34
	v_or_b32_e32 v36, v36, v20
	v_or_b32_e32 v20, v35, v20
	s_wait_alu 0xfffd
	v_dual_cndmask_b32 v25, v37, v25 :: v_dual_and_b32 v24, 0xffff, v24
	v_cmp_gt_u32_e32 vcc_lo, s3, v14
	v_or_b32_e32 v35, v34, v33
	v_lshrrev_b32_e32 v33, 24, v23
	v_sub_nc_u16 v37, v32, v23
	s_wait_alu 0xfffd
	v_cndmask_b32_e32 v20, v20, v36, vcc_lo
	v_lshlrev_b32_e32 v36, 16, v25
	v_sub_nc_u16 v39, v30, v33
	v_and_b32_e32 v25, 0xff, v25
	v_cmp_gt_u32_e32 vcc_lo, s3, v12
	v_lshrrev_b32_e32 v38, 16, v20
	v_and_or_b32 v17, 0xffff, v17, v36
	v_lshlrev_b16 v36, 8, v37
	v_sub_nc_u16 v37, v28, v21
	v_and_b32_e32 v39, 0xff, v39
	v_and_b32_e32 v38, 0xffffff00, v38
	v_perm_b32 v41, v17, v21, 0xc0c0306
	v_or_b32_e32 v25, v25, v36
	v_lshlrev_b16 v36, 8, v37
	v_and_b32_e32 v20, 0xffff, v20
	v_or_b32_e32 v37, v39, v38
	v_or_b32_e32 v38, v40, v38
	s_wait_alu 0xfffd
	v_cndmask_b32_e32 v25, v41, v25, vcc_lo
	v_or_b32_e32 v34, v34, v36
	v_lshlrev_b32_e32 v35, 16, v35
	v_lshlrev_b32_e32 v37, 16, v37
	;; [unrolled: 1-line block ×5, first 2 shown]
	v_cmp_gt_u32_e32 vcc_lo, s3, v15
	v_or_b32_e32 v35, v24, v35
	v_or_b32_e32 v36, v20, v36
	;; [unrolled: 1-line block ×4, first 2 shown]
	v_and_or_b32 v34, 0xffff, v17, v25
	v_perm_b32 v25, v31, v31, 0x3020104
	s_wait_alu 0xfffd
	v_cndmask_b32_e32 v20, v36, v20, vcc_lo
	v_cmp_gt_u32_e32 vcc_lo, s3, v8
	v_perm_b32 v17, v34, v34, 0x3020104
	s_delay_alu instid0(VALU_DEP_3)
	v_perm_b32 v20, v20, v23, 0x3060504
	s_wait_alu 0xfffd
	v_cndmask_b32_e32 v24, v35, v24, vcc_lo
	v_cmpx_gt_u32_e64 s3, v16
	s_cbranch_execz .LBB226_1
; %bb.3:                                ;   in Loop: Header=BB226_2 Depth=1
	ds_load_u8 v17, v0 offset:257
	v_lshrrev_b32_e32 v25, 8, v20
	v_lshrrev_b32_e32 v35, 16, v20
	v_and_b32_e32 v20, 0xff, v20
	s_delay_alu instid0(VALU_DEP_3) | instskip(NEXT) | instid1(VALU_DEP_3)
	v_lshlrev_b16 v25, 8, v25
	v_and_b32_e32 v35, 0xff, v35
	s_delay_alu instid0(VALU_DEP_2) | instskip(NEXT) | instid1(VALU_DEP_1)
	v_or_b32_e32 v20, v20, v25
	v_dual_mov_b32 v25, v31 :: v_dual_and_b32 v20, 0xffff, v20
	s_wait_dscnt 0x0
	v_sub_nc_u16 v17, v33, v17
	s_delay_alu instid0(VALU_DEP_1) | instskip(NEXT) | instid1(VALU_DEP_1)
	v_lshlrev_b16 v17, 8, v17
	v_or_b32_e32 v17, v35, v17
	s_delay_alu instid0(VALU_DEP_1) | instskip(NEXT) | instid1(VALU_DEP_1)
	v_lshlrev_b32_e32 v17, 16, v17
	v_or_b32_e32 v20, v20, v17
	v_mov_b32_e32 v17, v34
	s_branch .LBB226_1
.LBB226_4:
	v_lshlrev_b32_e32 v4, 16, v32
	v_lshlrev_b32_e32 v1, 16, v31
	;; [unrolled: 1-line block ×4, first 2 shown]
	s_add_nc_u64 s[0:1], s[0:1], s[8:9]
	v_or_b32_e32 v4, v26, v4
	v_add_co_u32 v0, s0, s0, v0
	v_or_b32_e32 v5, v29, v1
	v_or_b32_e32 v2, v27, v2
	v_or_b32_e32 v3, v22, v3
	s_wait_alu 0xf1ff
	v_add_co_ci_u32_e64 v1, null, s1, 0, s0
	v_lshrrev_b32_e32 v6, 8, v4
	v_lshrrev_b32_e32 v7, 24, v4
	;; [unrolled: 1-line block ×4, first 2 shown]
	s_clause 0x7
	global_store_b8 v[0:1], v4, off
	global_store_b8 v[0:1], v6, off offset:256
	global_store_d16_hi_b8 v[0:1], v4, off offset:512
	global_store_b8 v[0:1], v7, off offset:768
	global_store_b8 v[0:1], v3, off offset:1024
	;; [unrolled: 1-line block ×3, first 2 shown]
	global_store_d16_hi_b8 v[0:1], v3, off offset:1536
	global_store_b8 v[0:1], v9, off offset:1792
	v_lshrrev_b32_e32 v3, 8, v2
	v_lshrrev_b32_e32 v4, 24, v2
	;; [unrolled: 1-line block ×4, first 2 shown]
	s_clause 0x7
	global_store_b8 v[0:1], v2, off offset:2048
	global_store_b8 v[0:1], v3, off offset:2304
	global_store_d16_hi_b8 v[0:1], v2, off offset:2560
	global_store_b8 v[0:1], v4, off offset:2816
	global_store_b8 v[0:1], v5, off offset:3072
	;; [unrolled: 1-line block ×3, first 2 shown]
	global_store_d16_hi_b8 v[0:1], v5, off offset:3584
	global_store_b8 v[0:1], v7, off offset:3840
	s_endpgm
	.section	.rodata,"a",@progbits
	.p2align	6, 0x0
	.amdhsa_kernel _Z6kernelI27subtract_right_partial_tileLj256ELj16ELb1EJPaPiS1_jEEvDpT3_
		.amdhsa_group_segment_fixed_size 512
		.amdhsa_private_segment_fixed_size 0
		.amdhsa_kernarg_size 28
		.amdhsa_user_sgpr_count 2
		.amdhsa_user_sgpr_dispatch_ptr 0
		.amdhsa_user_sgpr_queue_ptr 0
		.amdhsa_user_sgpr_kernarg_segment_ptr 1
		.amdhsa_user_sgpr_dispatch_id 0
		.amdhsa_user_sgpr_private_segment_size 0
		.amdhsa_wavefront_size32 1
		.amdhsa_uses_dynamic_stack 0
		.amdhsa_enable_private_segment 0
		.amdhsa_system_sgpr_workgroup_id_x 1
		.amdhsa_system_sgpr_workgroup_id_y 0
		.amdhsa_system_sgpr_workgroup_id_z 0
		.amdhsa_system_sgpr_workgroup_info 0
		.amdhsa_system_vgpr_workitem_id 0
		.amdhsa_next_free_vgpr 46
		.amdhsa_next_free_sgpr 12
		.amdhsa_reserve_vcc 1
		.amdhsa_float_round_mode_32 0
		.amdhsa_float_round_mode_16_64 0
		.amdhsa_float_denorm_mode_32 3
		.amdhsa_float_denorm_mode_16_64 3
		.amdhsa_fp16_overflow 0
		.amdhsa_workgroup_processor_mode 1
		.amdhsa_memory_ordered 1
		.amdhsa_forward_progress 1
		.amdhsa_inst_pref_size 24
		.amdhsa_round_robin_scheduling 0
		.amdhsa_exception_fp_ieee_invalid_op 0
		.amdhsa_exception_fp_denorm_src 0
		.amdhsa_exception_fp_ieee_div_zero 0
		.amdhsa_exception_fp_ieee_overflow 0
		.amdhsa_exception_fp_ieee_underflow 0
		.amdhsa_exception_fp_ieee_inexact 0
		.amdhsa_exception_int_div_zero 0
	.end_amdhsa_kernel
	.section	.text._Z6kernelI27subtract_right_partial_tileLj256ELj16ELb1EJPaPiS1_jEEvDpT3_,"axG",@progbits,_Z6kernelI27subtract_right_partial_tileLj256ELj16ELb1EJPaPiS1_jEEvDpT3_,comdat
.Lfunc_end226:
	.size	_Z6kernelI27subtract_right_partial_tileLj256ELj16ELb1EJPaPiS1_jEEvDpT3_, .Lfunc_end226-_Z6kernelI27subtract_right_partial_tileLj256ELj16ELb1EJPaPiS1_jEEvDpT3_
                                        ; -- End function
	.set _Z6kernelI27subtract_right_partial_tileLj256ELj16ELb1EJPaPiS1_jEEvDpT3_.num_vgpr, 46
	.set _Z6kernelI27subtract_right_partial_tileLj256ELj16ELb1EJPaPiS1_jEEvDpT3_.num_agpr, 0
	.set _Z6kernelI27subtract_right_partial_tileLj256ELj16ELb1EJPaPiS1_jEEvDpT3_.numbered_sgpr, 12
	.set _Z6kernelI27subtract_right_partial_tileLj256ELj16ELb1EJPaPiS1_jEEvDpT3_.num_named_barrier, 0
	.set _Z6kernelI27subtract_right_partial_tileLj256ELj16ELb1EJPaPiS1_jEEvDpT3_.private_seg_size, 0
	.set _Z6kernelI27subtract_right_partial_tileLj256ELj16ELb1EJPaPiS1_jEEvDpT3_.uses_vcc, 1
	.set _Z6kernelI27subtract_right_partial_tileLj256ELj16ELb1EJPaPiS1_jEEvDpT3_.uses_flat_scratch, 0
	.set _Z6kernelI27subtract_right_partial_tileLj256ELj16ELb1EJPaPiS1_jEEvDpT3_.has_dyn_sized_stack, 0
	.set _Z6kernelI27subtract_right_partial_tileLj256ELj16ELb1EJPaPiS1_jEEvDpT3_.has_recursion, 0
	.set _Z6kernelI27subtract_right_partial_tileLj256ELj16ELb1EJPaPiS1_jEEvDpT3_.has_indirect_call, 0
	.section	.AMDGPU.csdata,"",@progbits
; Kernel info:
; codeLenInByte = 3064
; TotalNumSgprs: 14
; NumVgprs: 46
; ScratchSize: 0
; MemoryBound: 0
; FloatMode: 240
; IeeeMode: 1
; LDSByteSize: 512 bytes/workgroup (compile time only)
; SGPRBlocks: 0
; VGPRBlocks: 5
; NumSGPRsForWavesPerEU: 14
; NumVGPRsForWavesPerEU: 46
; Occupancy: 16
; WaveLimiterHint : 1
; COMPUTE_PGM_RSRC2:SCRATCH_EN: 0
; COMPUTE_PGM_RSRC2:USER_SGPR: 2
; COMPUTE_PGM_RSRC2:TRAP_HANDLER: 0
; COMPUTE_PGM_RSRC2:TGID_X_EN: 1
; COMPUTE_PGM_RSRC2:TGID_Y_EN: 0
; COMPUTE_PGM_RSRC2:TGID_Z_EN: 0
; COMPUTE_PGM_RSRC2:TIDIG_COMP_CNT: 0
	.section	.text._Z6kernelI27subtract_right_partial_tileLj256ELj32ELb1EJPaPiS1_jEEvDpT3_,"axG",@progbits,_Z6kernelI27subtract_right_partial_tileLj256ELj32ELb1EJPaPiS1_jEEvDpT3_,comdat
	.protected	_Z6kernelI27subtract_right_partial_tileLj256ELj32ELb1EJPaPiS1_jEEvDpT3_ ; -- Begin function _Z6kernelI27subtract_right_partial_tileLj256ELj32ELb1EJPaPiS1_jEEvDpT3_
	.globl	_Z6kernelI27subtract_right_partial_tileLj256ELj32ELb1EJPaPiS1_jEEvDpT3_
	.p2align	8
	.type	_Z6kernelI27subtract_right_partial_tileLj256ELj32ELb1EJPaPiS1_jEEvDpT3_,@function
_Z6kernelI27subtract_right_partial_tileLj256ELj32ELb1EJPaPiS1_jEEvDpT3_: ; @_Z6kernelI27subtract_right_partial_tileLj256ELj32ELb1EJPaPiS1_jEEvDpT3_
; %bb.0:
	s_load_b128 s[4:7], s[0:1], 0x0
	s_lshl_b32 s8, ttmp9, 13
	s_mov_b32 s9, 0
	s_load_b96 s[0:2], s[0:1], 0x10
	s_mov_b32 s10, ttmp9
	s_mov_b32 s11, s9
	v_lshlrev_b32_e32 v40, 5, v0
	s_delay_alu instid0(VALU_DEP_1)
	v_or_b32_e32 v9, 1, v40
	v_or_b32_e32 v10, 2, v40
	;; [unrolled: 1-line block ×9, first 2 shown]
	s_wait_kmcnt 0x0
	s_add_nc_u64 s[4:5], s[4:5], s[8:9]
	v_or_b32_e32 v18, 10, v40
	s_clause 0x1f
	global_load_u8 v1, v0, s[4:5] offset:256
	global_load_u8 v2, v0, s[4:5] offset:768
	;; [unrolled: 1-line block ×7, first 2 shown]
	global_load_u8 v8, v0, s[4:5]
	global_load_u8 v41, v0, s[4:5] offset:2304
	global_load_u8 v42, v0, s[4:5] offset:2816
	;; [unrolled: 1-line block ×24, first 2 shown]
	s_cvt_f32_u32 s3, s2
	s_lshl_b64 s[4:5], s[10:11], 2
	s_sub_co_i32 s10, 0, s2
	s_add_nc_u64 s[4:5], s[6:7], s[4:5]
	v_rcp_iflag_f32_e32 v29, s3
	s_load_b32 s4, s[4:5], 0x0
	v_or_b32_e32 v19, 11, v40
	v_or_b32_e32 v20, 12, v40
	;; [unrolled: 1-line block ×8, first 2 shown]
	v_readfirstlane_b32 s3, v29
	v_or_b32_e32 v27, 19, v40
	v_or_b32_e32 v28, 20, v40
	;; [unrolled: 1-line block ×4, first 2 shown]
	s_mul_f32 s3, s3, 0x4f7ffffe
	v_or_b32_e32 v31, 23, v40
	v_or_b32_e32 v32, 24, v40
	;; [unrolled: 1-line block ×3, first 2 shown]
	s_wait_alu 0xfffe
	s_cvt_u32_f32 s3, s3
	v_or_b32_e32 v34, 26, v40
	v_or_b32_e32 v35, 27, v40
	;; [unrolled: 1-line block ×3, first 2 shown]
	s_wait_alu 0xfffe
	s_mul_i32 s10, s10, s3
	v_or_b32_e32 v37, 29, v40
	s_mul_hi_u32 s10, s3, s10
	v_or_b32_e32 v38, 30, v40
	s_add_co_i32 s3, s3, s10
	v_or_b32_e32 v39, 31, v40
	s_wait_alu 0xfffe
	s_lshr_b32 s3, s3, 19
	v_add_nc_u32_e32 v40, 32, v40
	s_wait_alu 0xfffe
	s_mul_i32 s10, s3, s2
	s_add_co_i32 s7, s3, 1
	s_sub_co_i32 s6, 0x2000, s10
	s_delay_alu instid0(SALU_CYCLE_1)
	s_sub_co_i32 s10, s6, s2
	s_cmp_ge_u32 s6, s2
	s_cselect_b32 s3, s7, s3
	s_cselect_b32 s5, s10, s6
	s_wait_alu 0xfffe
	s_add_co_i32 s6, s3, 1
	s_cmp_ge_u32 s5, s2
	s_cselect_b32 s3, s6, s3
	s_wait_alu 0xfffe
	s_add_co_i32 s3, s3, 1
	s_wait_loadcnt 0x1b
	v_perm_b32 v4, v5, v4, 0xc0c0004
	s_wait_loadcnt 0x1a
	v_perm_b32 v6, v6, v3, 0xc0c0004
	;; [unrolled: 2-line block ×4, first 2 shown]
	v_lshl_or_b32 v4, v4, 16, v6
	s_delay_alu instid0(VALU_DEP_2)
	v_lshl_or_b32 v3, v2, 16, v1
	s_wait_loadcnt 0x12
	v_perm_b32 v8, v46, v43, 0xc0c0004
	s_wait_loadcnt 0x11
	v_perm_b32 v7, v47, v42, 0xc0c0004
	;; [unrolled: 2-line block ×3, first 2 shown]
	v_perm_b32 v41, v45, v44, 0xc0c0004
	s_wait_loadcnt 0xb
	v_perm_b32 v45, v53, v52, 0xc0c0004
	s_wait_loadcnt 0xa
	;; [unrolled: 2-line block ×4, first 2 shown]
	v_perm_b32 v42, v56, v49, 0xc0c0004
	v_lshl_or_b32 v1, v7, 16, v5
	v_lshl_or_b32 v2, v41, 16, v8
	;; [unrolled: 1-line block ×3, first 2 shown]
	s_wait_loadcnt 0x3
	v_perm_b32 v46, v61, v57, 0xc0c0004
	s_wait_loadcnt 0x2
	v_perm_b32 v47, v60, v62, 0xc0c0004
	;; [unrolled: 2-line block ×4, first 2 shown]
	v_lshl_or_b32 v7, v43, 16, v42
	v_lshl_or_b32 v5, v47, 16, v46
	s_delay_alu instid0(VALU_DEP_3)
	v_lshl_or_b32 v6, v49, 16, v48
	s_branch .LBB227_2
.LBB227_1:                              ;   in Loop: Header=BB227_2 Depth=1
	s_or_b32 exec_lo, exec_lo, s5
	v_lshrrev_b32_e32 v46, 8, v3
	v_cmp_gt_u32_e32 vcc_lo, s4, v9
	v_lshrrev_b32_e32 v52, 8, v1
	v_lshrrev_b32_e32 v47, 16, v3
	v_lshrrev_b64 v[43:44], 24, v[3:4]
	v_lshrrev_b64 v[54:55], 24, v[1:2]
	s_wait_alu 0xfffd
	v_cndmask_b32_e32 v45, 0, v46, vcc_lo
	v_cmp_gt_u32_e32 vcc_lo, s4, v10
	v_lshrrev_b32_e32 v56, 8, v2
	v_lshrrev_b32_e32 v48, 8, v4
	;; [unrolled: 1-line block ×3, first 2 shown]
	v_sub_nc_u16 v44, v3, v45
	s_wait_alu 0xfffd
	v_cndmask_b32_e32 v45, 0, v47, vcc_lo
	v_cmp_gt_u32_e32 vcc_lo, s4, v11
	v_lshrrev_b32_e32 v49, 16, v4
	v_lshrrev_b64 v[62:63], 24, v[7:8]
	v_lshrrev_b32_e32 v60, 8, v7
	v_lshrrev_b32_e32 v50, 24, v4
	s_wait_alu 0xfffd
	v_cndmask_b32_e32 v51, 0, v43, vcc_lo
	v_cmp_gt_u32_e32 vcc_lo, s4, v12
	v_lshrrev_b32_e32 v64, 8, v8
	v_sub_nc_u16 v67, v46, v45
	v_lshrrev_b64 v[70:71], 24, v[5:6]
	v_lshrrev_b32_e32 v66, 24, v8
	s_wait_alu 0xfffd
	v_cndmask_b32_e32 v55, 0, v4, vcc_lo
	v_cmp_gt_u32_e32 vcc_lo, s4, v13
	v_lshrrev_b32_e32 v53, 16, v1
	v_lshrrev_b32_e32 v69, 16, v5
	;; [unrolled: 1-line block ×3, first 2 shown]
	v_sub_nc_u16 v45, v43, v55
	s_wait_alu 0xfffd
	v_cndmask_b32_e32 v59, 0, v48, vcc_lo
	v_cmp_gt_u32_e32 vcc_lo, s4, v14
	v_lshrrev_b32_e32 v61, 16, v7
	v_lshrrev_b32_e32 v65, 16, v8
	;; [unrolled: 1-line block ×3, first 2 shown]
	v_sub_nc_u16 v55, v4, v59
	s_wait_alu 0xfffd
	v_cndmask_b32_e32 v63, 0, v49, vcc_lo
	v_cmp_gt_u32_e32 vcc_lo, s4, v15
	v_add_nc_u16 v43, v45, v43
	v_lshrrev_b32_e32 v72, 8, v6
	v_lshrrev_b32_e32 v73, 16, v6
	v_sub_nc_u16 v59, v48, v63
	s_wait_alu 0xfffd
	v_cndmask_b32_e32 v63, 0, v50, vcc_lo
	v_cmp_gt_u32_e32 vcc_lo, s4, v16
	v_add_nc_u16 v46, v67, v46
	s_add_co_i32 s2, s2, -1
	v_add_nc_u16 v48, v59, v48
	s_wait_loadcnt 0x0
	s_wait_alu 0xfffd
	v_cndmask_b32_e32 v71, 0, v1, vcc_lo
	v_cmp_gt_u32_e32 vcc_lo, s4, v17
	s_barrier_signal -1
	s_barrier_wait -1
	global_inv scope:SCOPE_SE
	s_wait_alu 0xfffd
	v_cndmask_b32_e32 v74, 0, v52, vcc_lo
	v_cmp_gt_u32_e32 vcc_lo, s4, v18
	s_delay_alu instid0(VALU_DEP_2)
	v_sub_nc_u16 v74, v1, v74
	s_wait_alu 0xfffd
	v_cndmask_b32_e32 v75, 0, v53, vcc_lo
	v_cmp_gt_u32_e32 vcc_lo, s4, v19
	s_wait_alu 0xfffd
	v_cndmask_b32_e32 v76, 0, v54, vcc_lo
	v_cmp_gt_u32_e32 vcc_lo, s4, v20
	s_delay_alu instid0(VALU_DEP_2) | instskip(SKIP_3) | instid1(VALU_DEP_3)
	v_sub_nc_u16 v76, v53, v76
	s_wait_alu 0xfffd
	v_cndmask_b32_e32 v77, 0, v2, vcc_lo
	v_cmp_gt_u32_e32 vcc_lo, s4, v21
	v_add_nc_u16 v53, v76, v53
	s_wait_alu 0xfffd
	v_cndmask_b32_e32 v78, 0, v56, vcc_lo
	v_sub_nc_u16 v51, v47, v51
	v_cmp_gt_u32_e32 vcc_lo, s4, v22
	s_delay_alu instid0(VALU_DEP_3) | instskip(NEXT) | instid1(VALU_DEP_3)
	v_sub_nc_u16 v78, v2, v78
	v_add_nc_u16 v47, v51, v47
	s_wait_alu 0xfffd
	v_cndmask_b32_e32 v79, 0, v57, vcc_lo
	v_cmp_gt_u32_e32 vcc_lo, s4, v23
	s_wait_alu 0xfffd
	v_cndmask_b32_e32 v80, 0, v58, vcc_lo
	v_cmp_gt_u32_e32 vcc_lo, s4, v24
	s_delay_alu instid0(VALU_DEP_2) | instskip(SKIP_3) | instid1(VALU_DEP_3)
	v_sub_nc_u16 v80, v57, v80
	s_wait_alu 0xfffd
	v_cndmask_b32_e32 v81, 0, v7, vcc_lo
	v_cmp_gt_u32_e32 vcc_lo, s4, v25
	v_add_nc_u16 v57, v80, v57
	s_wait_alu 0xfffd
	v_cndmask_b32_e32 v82, 0, v60, vcc_lo
	v_cmp_gt_u32_e32 vcc_lo, s4, v26
	s_delay_alu instid0(VALU_DEP_2)
	v_sub_nc_u16 v82, v7, v82
	s_wait_alu 0xfffd
	v_cndmask_b32_e32 v83, 0, v61, vcc_lo
	v_cmp_gt_u32_e32 vcc_lo, s4, v27
	s_wait_alu 0xfffd
	v_cndmask_b32_e32 v84, 0, v62, vcc_lo
	v_cmp_gt_u32_e32 vcc_lo, s4, v28
	s_delay_alu instid0(VALU_DEP_2) | instskip(SKIP_3) | instid1(VALU_DEP_3)
	v_sub_nc_u16 v84, v61, v84
	s_wait_alu 0xfffd
	v_cndmask_b32_e32 v85, 0, v8, vcc_lo
	v_cmp_gt_u32_e32 vcc_lo, s4, v29
	v_add_nc_u16 v61, v84, v61
	s_wait_alu 0xfffd
	v_cndmask_b32_e32 v86, 0, v64, vcc_lo
	v_cmp_gt_u32_e32 vcc_lo, s4, v30
	v_sub_nc_u16 v63, v49, v63
	s_delay_alu instid0(VALU_DEP_3)
	v_sub_nc_u16 v86, v8, v86
	s_wait_alu 0xfffd
	v_cndmask_b32_e32 v87, 0, v65, vcc_lo
	v_cmp_gt_u32_e32 vcc_lo, s4, v31
	v_add_nc_u16 v49, v63, v49
	v_add_nc_u16 v63, v86, v8
	s_wait_alu 0xfffd
	v_cndmask_b32_e32 v88, 0, v66, vcc_lo
	v_cmp_gt_u32_e32 vcc_lo, s4, v32
	v_sub_nc_u16 v71, v50, v71
	v_and_b32_e32 v76, 0xff, v63
	s_delay_alu instid0(VALU_DEP_4)
	v_sub_nc_u16 v88, v65, v88
	s_wait_alu 0xfffd
	v_cndmask_b32_e32 v89, 0, v5, vcc_lo
	v_cmp_gt_u32_e32 vcc_lo, s4, v33
	v_add_nc_u16 v50, v71, v50
	v_add_nc_u16 v65, v88, v65
	s_wait_alu 0xfffd
	v_cndmask_b32_e32 v45, 0, v68, vcc_lo
	v_cmp_gt_u32_e32 vcc_lo, s4, v34
	s_delay_alu instid0(VALU_DEP_2)
	v_sub_nc_u16 v91, v5, v45
	s_wait_alu 0xfffd
	v_cndmask_b32_e32 v90, 0, v69, vcc_lo
	v_cmp_gt_u32_e32 vcc_lo, s4, v35
	v_add_nc_u16 v45, v44, v3
	v_add_nc_u16 v44, v55, v4
	v_sub_nc_u16 v77, v54, v77
	v_add_nc_u16 v67, v91, v5
	s_wait_alu 0xfffd
	v_cndmask_b32_e32 v3, 0, v70, vcc_lo
	v_cmp_gt_u32_e32 vcc_lo, s4, v36
	v_lshlrev_b16 v5, 8, v48
	v_add_nc_u16 v54, v77, v54
	v_sub_nc_u16 v90, v68, v90
	v_sub_nc_u16 v3, v69, v3
	s_wait_alu 0xfffd
	v_cndmask_b32_e32 v4, 0, v6, vcc_lo
	v_cmp_gt_u32_e32 vcc_lo, s4, v37
	v_sub_nc_u16 v75, v52, v75
	v_add_nc_u16 v68, v90, v68
	v_add_nc_u16 v69, v3, v69
	v_sub_nc_u16 v4, v70, v4
	s_wait_alu 0xfffd
	v_cndmask_b32_e32 v55, 0, v72, vcc_lo
	v_cmp_gt_u32_e32 vcc_lo, s4, v38
	v_add_nc_u16 v52, v75, v52
	v_lshlrev_b16 v3, 8, v43
	v_add_nc_u16 v70, v4, v70
	v_sub_nc_u16 v92, v6, v55
	s_wait_alu 0xfffd
	v_cndmask_b32_e32 v51, 0, v73, vcc_lo
	v_cmp_gt_u32_e32 vcc_lo, s4, v39
	v_add_nc_u16 v55, v78, v2
	v_lshlrev_b16 v2, 8, v46
	v_add_nc_u16 v71, v92, v6
	v_sub_nc_u16 v93, v72, v51
	v_add_nc_u16 v51, v74, v1
	v_and_b32_e32 v1, 0xff, v45
	s_wait_alu 0xfffd
	v_cndmask_b32_e32 v59, 0, v41, vcc_lo
	v_add_nc_u16 v41, v42, v41
	v_and_b32_e32 v4, 0xff, v44
	v_and_b32_e32 v6, 0xff, v49
	v_or_b32_e32 v1, v1, v2
	v_and_b32_e32 v2, 0xff, v47
	v_sub_nc_u16 v94, v73, v59
	v_add_nc_u16 v59, v82, v7
	v_lshlrev_b16 v7, 8, v50
	v_and_b32_e32 v8, 0xff, v51
	v_lshlrev_b16 v42, 8, v52
	v_and_b32_e32 v74, 0xff, v53
	v_lshlrev_b16 v75, 8, v54
	v_or_b32_e32 v2, v2, v3
	v_sub_nc_u16 v79, v56, v79
	v_sub_nc_u16 v81, v58, v81
	v_sub_nc_u16 v83, v60, v83
	v_sub_nc_u16 v85, v62, v85
	v_or_b32_e32 v3, v4, v5
	v_or_b32_e32 v4, v6, v7
	;; [unrolled: 1-line block ×4, first 2 shown]
	v_lshlrev_b32_e32 v2, 16, v2
	v_sub_nc_u16 v87, v64, v87
	v_add_nc_u16 v56, v79, v56
	v_add_nc_u16 v58, v81, v58
	;; [unrolled: 1-line block ×5, first 2 shown]
	v_and_b32_e32 v1, 0xffff, v1
	v_and_b32_e32 v7, 0xffff, v3
	v_lshlrev_b32_e32 v4, 16, v4
	v_sub_nc_u16 v89, v66, v89
	v_and_b32_e32 v5, 0xffff, v5
	v_lshlrev_b32_e32 v6, 16, v6
	v_add_nc_u16 v72, v93, v72
	v_add_nc_u16 v73, v94, v73
	;; [unrolled: 1-line block ×3, first 2 shown]
	v_or_b32_e32 v3, v1, v2
	v_or_b32_e32 v4, v7, v4
	v_or_b32_e32 v1, v5, v6
	v_and_b32_e32 v2, 0xff, v55
	v_lshlrev_b16 v5, 8, v56
	v_and_b32_e32 v6, 0xff, v57
	v_lshlrev_b16 v7, 8, v58
	;; [unrolled: 2-line block ×4, first 2 shown]
	v_lshlrev_b16 v77, 8, v64
	v_or_b32_e32 v2, v2, v5
	v_or_b32_e32 v5, v6, v7
	;; [unrolled: 1-line block ×5, first 2 shown]
	v_and_b32_e32 v42, 0xff, v65
	v_lshlrev_b16 v74, 8, v66
	v_and_b32_e32 v75, 0xff, v67
	v_lshlrev_b16 v76, 8, v68
	;; [unrolled: 2-line block ×4, first 2 shown]
	v_lshlrev_b16 v81, 8, v41
	v_and_b32_e32 v82, 0xff, v73
	v_or_b32_e32 v42, v42, v74
	v_or_b32_e32 v74, v75, v76
	;; [unrolled: 1-line block ×5, first 2 shown]
	v_and_b32_e32 v2, 0xffff, v2
	v_lshlrev_b32_e32 v5, 16, v5
	v_and_b32_e32 v6, 0xffff, v6
	v_lshlrev_b32_e32 v7, 16, v7
	;; [unrolled: 2-line block ×5, first 2 shown]
	s_add_co_i32 s4, s3, s4
	v_or_b32_e32 v2, v2, v5
	v_or_b32_e32 v7, v6, v7
	;; [unrolled: 1-line block ×5, first 2 shown]
	s_wait_alu 0xfffe
	s_and_b32 s4, s4, 0x1fff
	s_cmp_lg_u32 s2, 0
	s_cbranch_scc0 .LBB227_4
.LBB227_2:                              ; =>This Inner Loop Header: Depth=1
	s_delay_alu instid0(VALU_DEP_1)
	v_lshrrev_b32_e32 v41, 24, v6
	s_mov_b32 s5, exec_lo
	ds_store_b8 v0, v3 offset:256
	s_wait_dscnt 0x0
	s_barrier_signal -1
	v_mov_b32_e32 v42, v41
	s_barrier_wait -1
	global_inv scope:SCOPE_SE
	s_wait_kmcnt 0x0
	s_wait_alu 0xfffe
	v_cmpx_gt_u32_e64 s4, v40
	s_cbranch_execz .LBB227_1
; %bb.3:                                ;   in Loop: Header=BB227_2 Depth=1
	ds_load_u8 v42, v0 offset:257
	s_wait_dscnt 0x0
	v_sub_nc_u16 v42, v41, v42
	s_branch .LBB227_1
.LBB227_4:
	s_add_nc_u64 s[0:1], s[0:1], s[8:9]
	s_delay_alu instid0(SALU_CYCLE_1)
	v_add_co_u32 v0, s0, s0, v0
	s_wait_alu 0xf1ff
	v_add_co_ci_u32_e64 v1, null, s1, 0, s0
	s_clause 0x1f
	global_store_b8 v[0:1], v45, off
	global_store_b8 v[0:1], v46, off offset:256
	global_store_b8 v[0:1], v47, off offset:512
	;; [unrolled: 1-line block ×31, first 2 shown]
	s_endpgm
	.section	.rodata,"a",@progbits
	.p2align	6, 0x0
	.amdhsa_kernel _Z6kernelI27subtract_right_partial_tileLj256ELj32ELb1EJPaPiS1_jEEvDpT3_
		.amdhsa_group_segment_fixed_size 512
		.amdhsa_private_segment_fixed_size 0
		.amdhsa_kernarg_size 28
		.amdhsa_user_sgpr_count 2
		.amdhsa_user_sgpr_dispatch_ptr 0
		.amdhsa_user_sgpr_queue_ptr 0
		.amdhsa_user_sgpr_kernarg_segment_ptr 1
		.amdhsa_user_sgpr_dispatch_id 0
		.amdhsa_user_sgpr_private_segment_size 0
		.amdhsa_wavefront_size32 1
		.amdhsa_uses_dynamic_stack 0
		.amdhsa_enable_private_segment 0
		.amdhsa_system_sgpr_workgroup_id_x 1
		.amdhsa_system_sgpr_workgroup_id_y 0
		.amdhsa_system_sgpr_workgroup_id_z 0
		.amdhsa_system_sgpr_workgroup_info 0
		.amdhsa_system_vgpr_workitem_id 0
		.amdhsa_next_free_vgpr 95
		.amdhsa_next_free_sgpr 12
		.amdhsa_reserve_vcc 1
		.amdhsa_float_round_mode_32 0
		.amdhsa_float_round_mode_16_64 0
		.amdhsa_float_denorm_mode_32 3
		.amdhsa_float_denorm_mode_16_64 3
		.amdhsa_fp16_overflow 0
		.amdhsa_workgroup_processor_mode 1
		.amdhsa_memory_ordered 1
		.amdhsa_forward_progress 1
		.amdhsa_inst_pref_size 24
		.amdhsa_round_robin_scheduling 0
		.amdhsa_exception_fp_ieee_invalid_op 0
		.amdhsa_exception_fp_denorm_src 0
		.amdhsa_exception_fp_ieee_div_zero 0
		.amdhsa_exception_fp_ieee_overflow 0
		.amdhsa_exception_fp_ieee_underflow 0
		.amdhsa_exception_fp_ieee_inexact 0
		.amdhsa_exception_int_div_zero 0
	.end_amdhsa_kernel
	.section	.text._Z6kernelI27subtract_right_partial_tileLj256ELj32ELb1EJPaPiS1_jEEvDpT3_,"axG",@progbits,_Z6kernelI27subtract_right_partial_tileLj256ELj32ELb1EJPaPiS1_jEEvDpT3_,comdat
.Lfunc_end227:
	.size	_Z6kernelI27subtract_right_partial_tileLj256ELj32ELb1EJPaPiS1_jEEvDpT3_, .Lfunc_end227-_Z6kernelI27subtract_right_partial_tileLj256ELj32ELb1EJPaPiS1_jEEvDpT3_
                                        ; -- End function
	.set _Z6kernelI27subtract_right_partial_tileLj256ELj32ELb1EJPaPiS1_jEEvDpT3_.num_vgpr, 95
	.set _Z6kernelI27subtract_right_partial_tileLj256ELj32ELb1EJPaPiS1_jEEvDpT3_.num_agpr, 0
	.set _Z6kernelI27subtract_right_partial_tileLj256ELj32ELb1EJPaPiS1_jEEvDpT3_.numbered_sgpr, 12
	.set _Z6kernelI27subtract_right_partial_tileLj256ELj32ELb1EJPaPiS1_jEEvDpT3_.num_named_barrier, 0
	.set _Z6kernelI27subtract_right_partial_tileLj256ELj32ELb1EJPaPiS1_jEEvDpT3_.private_seg_size, 0
	.set _Z6kernelI27subtract_right_partial_tileLj256ELj32ELb1EJPaPiS1_jEEvDpT3_.uses_vcc, 1
	.set _Z6kernelI27subtract_right_partial_tileLj256ELj32ELb1EJPaPiS1_jEEvDpT3_.uses_flat_scratch, 0
	.set _Z6kernelI27subtract_right_partial_tileLj256ELj32ELb1EJPaPiS1_jEEvDpT3_.has_dyn_sized_stack, 0
	.set _Z6kernelI27subtract_right_partial_tileLj256ELj32ELb1EJPaPiS1_jEEvDpT3_.has_recursion, 0
	.set _Z6kernelI27subtract_right_partial_tileLj256ELj32ELb1EJPaPiS1_jEEvDpT3_.has_indirect_call, 0
	.section	.AMDGPU.csdata,"",@progbits
; Kernel info:
; codeLenInByte = 3064
; TotalNumSgprs: 14
; NumVgprs: 95
; ScratchSize: 0
; MemoryBound: 0
; FloatMode: 240
; IeeeMode: 1
; LDSByteSize: 512 bytes/workgroup (compile time only)
; SGPRBlocks: 0
; VGPRBlocks: 11
; NumSGPRsForWavesPerEU: 14
; NumVGPRsForWavesPerEU: 95
; Occupancy: 16
; WaveLimiterHint : 1
; COMPUTE_PGM_RSRC2:SCRATCH_EN: 0
; COMPUTE_PGM_RSRC2:USER_SGPR: 2
; COMPUTE_PGM_RSRC2:TRAP_HANDLER: 0
; COMPUTE_PGM_RSRC2:TGID_X_EN: 1
; COMPUTE_PGM_RSRC2:TGID_Y_EN: 0
; COMPUTE_PGM_RSRC2:TGID_Z_EN: 0
; COMPUTE_PGM_RSRC2:TIDIG_COMP_CNT: 0
	.section	.text._Z6kernelI27subtract_right_partial_tileLj256ELj1ELb1EJPxPiS1_jEEvDpT3_,"axG",@progbits,_Z6kernelI27subtract_right_partial_tileLj256ELj1ELb1EJPxPiS1_jEEvDpT3_,comdat
	.protected	_Z6kernelI27subtract_right_partial_tileLj256ELj1ELb1EJPxPiS1_jEEvDpT3_ ; -- Begin function _Z6kernelI27subtract_right_partial_tileLj256ELj1ELb1EJPxPiS1_jEEvDpT3_
	.globl	_Z6kernelI27subtract_right_partial_tileLj256ELj1ELb1EJPxPiS1_jEEvDpT3_
	.p2align	8
	.type	_Z6kernelI27subtract_right_partial_tileLj256ELj1ELb1EJPxPiS1_jEEvDpT3_,@function
_Z6kernelI27subtract_right_partial_tileLj256ELj1ELb1EJPxPiS1_jEEvDpT3_: ; @_Z6kernelI27subtract_right_partial_tileLj256ELj1ELb1EJPxPiS1_jEEvDpT3_
; %bb.0:
	s_load_b128 s[8:11], s[0:1], 0x0
	s_lshl_b32 s6, ttmp9, 8
	s_mov_b32 s7, 0
	v_lshlrev_b32_e32 v5, 3, v0
	s_lshl_b64 s[4:5], s[6:7], 3
	s_load_b96 s[0:2], s[0:1], 0x10
	s_mov_b32 s6, ttmp9
	v_add_nc_u32_e32 v6, 1, v0
	s_lshl_b64 s[6:7], s[6:7], 2
	s_wait_kmcnt 0x0
	s_add_nc_u64 s[8:9], s[8:9], s[4:5]
	s_add_nc_u64 s[6:7], s[10:11], s[6:7]
	global_load_b64 v[1:2], v5, s[8:9]
	s_cvt_f32_u32 s3, s2
	s_delay_alu instid0(SALU_CYCLE_3) | instskip(NEXT) | instid1(TRANS32_DEP_1)
	v_rcp_iflag_f32_e32 v3, s3
	v_readfirstlane_b32 s3, v3
	s_mul_f32 s3, s3, 0x4f7ffffe
	s_wait_alu 0xfffe
	s_delay_alu instid0(SALU_CYCLE_2) | instskip(SKIP_2) | instid1(SALU_CYCLE_1)
	s_cvt_u32_f32 s8, s3
	s_sub_co_i32 s3, 0, s2
	s_wait_alu 0xfffe
	s_mul_i32 s3, s3, s8
	s_wait_alu 0xfffe
	s_mul_hi_u32 s9, s8, s3
	s_load_b32 s3, s[6:7], 0x0
	s_add_co_i32 s8, s8, s9
	s_delay_alu instid0(SALU_CYCLE_1) | instskip(NEXT) | instid1(SALU_CYCLE_1)
	s_lshr_b32 s6, s8, 24
	s_mul_i32 s7, s6, s2
	s_add_co_i32 s8, s6, 1
	s_sub_co_i32 s7, 0x100, s7
	s_delay_alu instid0(SALU_CYCLE_1)
	s_sub_co_i32 s9, s7, s2
	s_cmp_ge_u32 s7, s2
	s_cselect_b32 s6, s8, s6
	s_cselect_b32 s7, s9, s7
	s_add_co_i32 s8, s6, 1
	s_cmp_ge_u32 s7, s2
	s_cselect_b32 s6, s8, s6
	s_delay_alu instid0(SALU_CYCLE_1)
	s_add_co_i32 s6, s6, 1
	s_branch .LBB228_2
.LBB228_1:                              ;   in Loop: Header=BB228_2 Depth=1
	s_or_b32 exec_lo, exec_lo, s7
	v_add_co_u32 v1, vcc_lo, v3, v1
	s_add_co_i32 s3, s6, s3
	s_wait_alu 0xfffd
	v_add_co_ci_u32_e64 v2, null, v4, v2, vcc_lo
	s_add_co_i32 s2, s2, -1
	s_wait_alu 0xfffe
	s_and_b32 s3, s3, 0xff
	s_cmp_lg_u32 s2, 0
	s_wait_loadcnt 0x0
	s_barrier_signal -1
	s_barrier_wait -1
	global_inv scope:SCOPE_SE
	s_cbranch_scc0 .LBB228_4
.LBB228_2:                              ; =>This Inner Loop Header: Depth=1
	s_wait_loadcnt 0x0
	v_dual_mov_b32 v4, v2 :: v_dual_mov_b32 v3, v1
	s_mov_b32 s7, exec_lo
	ds_store_b64 v5, v[1:2] offset:2048
	s_wait_dscnt 0x0
	s_barrier_signal -1
	s_barrier_wait -1
	global_inv scope:SCOPE_SE
	s_wait_kmcnt 0x0
	s_wait_alu 0xfffe
	v_cmpx_gt_u32_e64 s3, v6
	s_cbranch_execz .LBB228_1
; %bb.3:                                ;   in Loop: Header=BB228_2 Depth=1
	ds_load_b64 v[3:4], v5 offset:2056
	s_wait_dscnt 0x0
	v_sub_co_u32 v3, vcc_lo, v1, v3
	s_wait_alu 0xfffd
	v_sub_co_ci_u32_e64 v4, null, v2, v4, vcc_lo
	s_branch .LBB228_1
.LBB228_4:
	v_lshlrev_b32_e32 v0, 3, v0
	s_add_nc_u64 s[0:1], s[0:1], s[4:5]
	global_store_b64 v0, v[1:2], s[0:1]
	s_endpgm
	.section	.rodata,"a",@progbits
	.p2align	6, 0x0
	.amdhsa_kernel _Z6kernelI27subtract_right_partial_tileLj256ELj1ELb1EJPxPiS1_jEEvDpT3_
		.amdhsa_group_segment_fixed_size 4096
		.amdhsa_private_segment_fixed_size 0
		.amdhsa_kernarg_size 28
		.amdhsa_user_sgpr_count 2
		.amdhsa_user_sgpr_dispatch_ptr 0
		.amdhsa_user_sgpr_queue_ptr 0
		.amdhsa_user_sgpr_kernarg_segment_ptr 1
		.amdhsa_user_sgpr_dispatch_id 0
		.amdhsa_user_sgpr_private_segment_size 0
		.amdhsa_wavefront_size32 1
		.amdhsa_uses_dynamic_stack 0
		.amdhsa_enable_private_segment 0
		.amdhsa_system_sgpr_workgroup_id_x 1
		.amdhsa_system_sgpr_workgroup_id_y 0
		.amdhsa_system_sgpr_workgroup_id_z 0
		.amdhsa_system_sgpr_workgroup_info 0
		.amdhsa_system_vgpr_workitem_id 0
		.amdhsa_next_free_vgpr 7
		.amdhsa_next_free_sgpr 12
		.amdhsa_reserve_vcc 1
		.amdhsa_float_round_mode_32 0
		.amdhsa_float_round_mode_16_64 0
		.amdhsa_float_denorm_mode_32 3
		.amdhsa_float_denorm_mode_16_64 3
		.amdhsa_fp16_overflow 0
		.amdhsa_workgroup_processor_mode 1
		.amdhsa_memory_ordered 1
		.amdhsa_forward_progress 1
		.amdhsa_inst_pref_size 4
		.amdhsa_round_robin_scheduling 0
		.amdhsa_exception_fp_ieee_invalid_op 0
		.amdhsa_exception_fp_denorm_src 0
		.amdhsa_exception_fp_ieee_div_zero 0
		.amdhsa_exception_fp_ieee_overflow 0
		.amdhsa_exception_fp_ieee_underflow 0
		.amdhsa_exception_fp_ieee_inexact 0
		.amdhsa_exception_int_div_zero 0
	.end_amdhsa_kernel
	.section	.text._Z6kernelI27subtract_right_partial_tileLj256ELj1ELb1EJPxPiS1_jEEvDpT3_,"axG",@progbits,_Z6kernelI27subtract_right_partial_tileLj256ELj1ELb1EJPxPiS1_jEEvDpT3_,comdat
.Lfunc_end228:
	.size	_Z6kernelI27subtract_right_partial_tileLj256ELj1ELb1EJPxPiS1_jEEvDpT3_, .Lfunc_end228-_Z6kernelI27subtract_right_partial_tileLj256ELj1ELb1EJPxPiS1_jEEvDpT3_
                                        ; -- End function
	.set _Z6kernelI27subtract_right_partial_tileLj256ELj1ELb1EJPxPiS1_jEEvDpT3_.num_vgpr, 7
	.set _Z6kernelI27subtract_right_partial_tileLj256ELj1ELb1EJPxPiS1_jEEvDpT3_.num_agpr, 0
	.set _Z6kernelI27subtract_right_partial_tileLj256ELj1ELb1EJPxPiS1_jEEvDpT3_.numbered_sgpr, 12
	.set _Z6kernelI27subtract_right_partial_tileLj256ELj1ELb1EJPxPiS1_jEEvDpT3_.num_named_barrier, 0
	.set _Z6kernelI27subtract_right_partial_tileLj256ELj1ELb1EJPxPiS1_jEEvDpT3_.private_seg_size, 0
	.set _Z6kernelI27subtract_right_partial_tileLj256ELj1ELb1EJPxPiS1_jEEvDpT3_.uses_vcc, 1
	.set _Z6kernelI27subtract_right_partial_tileLj256ELj1ELb1EJPxPiS1_jEEvDpT3_.uses_flat_scratch, 0
	.set _Z6kernelI27subtract_right_partial_tileLj256ELj1ELb1EJPxPiS1_jEEvDpT3_.has_dyn_sized_stack, 0
	.set _Z6kernelI27subtract_right_partial_tileLj256ELj1ELb1EJPxPiS1_jEEvDpT3_.has_recursion, 0
	.set _Z6kernelI27subtract_right_partial_tileLj256ELj1ELb1EJPxPiS1_jEEvDpT3_.has_indirect_call, 0
	.section	.AMDGPU.csdata,"",@progbits
; Kernel info:
; codeLenInByte = 408
; TotalNumSgprs: 14
; NumVgprs: 7
; ScratchSize: 0
; MemoryBound: 0
; FloatMode: 240
; IeeeMode: 1
; LDSByteSize: 4096 bytes/workgroup (compile time only)
; SGPRBlocks: 0
; VGPRBlocks: 0
; NumSGPRsForWavesPerEU: 14
; NumVGPRsForWavesPerEU: 7
; Occupancy: 16
; WaveLimiterHint : 0
; COMPUTE_PGM_RSRC2:SCRATCH_EN: 0
; COMPUTE_PGM_RSRC2:USER_SGPR: 2
; COMPUTE_PGM_RSRC2:TRAP_HANDLER: 0
; COMPUTE_PGM_RSRC2:TGID_X_EN: 1
; COMPUTE_PGM_RSRC2:TGID_Y_EN: 0
; COMPUTE_PGM_RSRC2:TGID_Z_EN: 0
; COMPUTE_PGM_RSRC2:TIDIG_COMP_CNT: 0
	.section	.text._Z6kernelI27subtract_right_partial_tileLj256ELj3ELb1EJPxPiS1_jEEvDpT3_,"axG",@progbits,_Z6kernelI27subtract_right_partial_tileLj256ELj3ELb1EJPxPiS1_jEEvDpT3_,comdat
	.protected	_Z6kernelI27subtract_right_partial_tileLj256ELj3ELb1EJPxPiS1_jEEvDpT3_ ; -- Begin function _Z6kernelI27subtract_right_partial_tileLj256ELj3ELb1EJPxPiS1_jEEvDpT3_
	.globl	_Z6kernelI27subtract_right_partial_tileLj256ELj3ELb1EJPxPiS1_jEEvDpT3_
	.p2align	8
	.type	_Z6kernelI27subtract_right_partial_tileLj256ELj3ELb1EJPxPiS1_jEEvDpT3_,@function
_Z6kernelI27subtract_right_partial_tileLj256ELj3ELb1EJPxPiS1_jEEvDpT3_: ; @_Z6kernelI27subtract_right_partial_tileLj256ELj3ELb1EJPxPiS1_jEEvDpT3_
; %bb.0:
	s_load_b128 s[8:11], s[0:1], 0x0
	s_mul_i32 s6, ttmp9, 0x300
	s_mov_b32 s7, 0
	v_lshlrev_b32_e32 v9, 3, v0
	s_lshl_b64 s[4:5], s[6:7], 3
	s_load_b96 s[0:2], s[0:1], 0x10
	v_mad_u32_u24 v10, v0, 3, 1
	v_mad_u32_u24 v11, v0, 3, 2
	;; [unrolled: 1-line block ×3, first 2 shown]
	s_wait_kmcnt 0x0
	s_add_nc_u64 s[8:9], s[8:9], s[4:5]
	s_clause 0x2
	global_load_b64 v[1:2], v9, s[8:9]
	global_load_b64 v[3:4], v9, s[8:9] offset:2048
	global_load_b64 v[5:6], v9, s[8:9] offset:4096
	s_cvt_f32_u32 s3, s2
	s_sub_co_i32 s6, 0, s2
	s_delay_alu instid0(SALU_CYCLE_2) | instskip(NEXT) | instid1(TRANS32_DEP_1)
	v_rcp_iflag_f32_e32 v7, s3
	v_readfirstlane_b32 s3, v7
	s_mul_f32 s3, s3, 0x4f7ffffe
	s_wait_alu 0xfffe
	s_delay_alu instid0(SALU_CYCLE_2) | instskip(SKIP_1) | instid1(SALU_CYCLE_2)
	s_cvt_u32_f32 s3, s3
	s_wait_alu 0xfffe
	s_mul_i32 s8, s6, s3
	s_mov_b32 s6, ttmp9
	s_mul_hi_u32 s8, s3, s8
	s_lshl_b64 s[6:7], s[6:7], 2
	s_add_co_i32 s8, s3, s8
	s_add_nc_u64 s[6:7], s[10:11], s[6:7]
	s_load_b32 s3, s[6:7], 0x0
	s_mul_hi_u32 s7, s8, 0x300
	s_delay_alu instid0(SALU_CYCLE_1)
	s_mul_i32 s6, s7, s2
	s_add_co_i32 s9, s7, 1
	s_sub_co_i32 s8, 0x300, s6
	s_mov_b32 s6, s0
	s_sub_co_i32 s10, s8, s2
	s_cmp_ge_u32 s8, s2
	s_cselect_b32 s0, s9, s7
	s_cselect_b32 s7, s10, s8
	s_add_co_i32 s8, s0, 1
	s_cmp_ge_u32 s7, s2
	s_mov_b32 s7, s1
	s_cselect_b32 s0, s8, s0
	s_delay_alu instid0(SALU_CYCLE_1)
	s_add_co_i32 s1, s0, 1
	s_branch .LBB229_2
.LBB229_1:                              ;   in Loop: Header=BB229_2 Depth=1
	s_or_b32 exec_lo, exec_lo, s0
	v_cmp_gt_u32_e32 vcc_lo, s3, v10
	v_cmp_gt_u32_e64 s0, s3, v11
	s_add_co_i32 s3, s1, s3
	s_add_co_i32 s2, s2, -1
	s_wait_loadcnt 0x0
	s_wait_alu 0xfffd
	v_dual_cndmask_b32 v13, 0, v4 :: v_dual_cndmask_b32 v14, 0, v3
	v_cndmask_b32_e64 v16, 0, v5, s0
	v_cndmask_b32_e64 v15, 0, v6, s0
	s_wait_alu 0xfffe
	s_mul_hi_u32 s0, s3, 0xaaaaaaab
	s_barrier_signal -1
	v_sub_co_u32 v14, vcc_lo, v1, v14
	s_wait_alu 0xfffd
	v_sub_co_ci_u32_e64 v13, null, v2, v13, vcc_lo
	v_sub_co_u32 v16, vcc_lo, v3, v16
	s_wait_alu 0xfffd
	v_sub_co_ci_u32_e64 v15, null, v4, v15, vcc_lo
	v_add_co_u32 v1, vcc_lo, v14, v1
	s_wait_alu 0xfffd
	v_add_co_ci_u32_e64 v2, null, v13, v2, vcc_lo
	v_add_co_u32 v3, vcc_lo, v16, v3
	s_wait_alu 0xfffe
	s_lshr_b32 s0, s0, 9
	s_wait_alu 0xfffd
	v_add_co_ci_u32_e64 v4, null, v15, v4, vcc_lo
	v_add_co_u32 v5, vcc_lo, v7, v5
	s_wait_alu 0xfffe
	s_mulk_i32 s0, 0x300
	s_wait_alu 0xfffd
	v_add_co_ci_u32_e64 v6, null, v8, v6, vcc_lo
	s_wait_alu 0xfffe
	s_sub_co_i32 s3, s3, s0
	s_cmp_lg_u32 s2, 0
	s_barrier_wait -1
	global_inv scope:SCOPE_SE
	s_cbranch_scc0 .LBB229_4
.LBB229_2:                              ; =>This Inner Loop Header: Depth=1
	s_wait_loadcnt 0x0
	v_dual_mov_b32 v8, v6 :: v_dual_mov_b32 v7, v5
	s_mov_b32 s0, exec_lo
	ds_store_b64 v9, v[1:2] offset:2048
	s_wait_dscnt 0x0
	s_barrier_signal -1
	s_barrier_wait -1
	global_inv scope:SCOPE_SE
	s_wait_kmcnt 0x0
	s_wait_alu 0xfffe
	v_cmpx_gt_u32_e64 s3, v12
	s_cbranch_execz .LBB229_1
; %bb.3:                                ;   in Loop: Header=BB229_2 Depth=1
	ds_load_b64 v[7:8], v9 offset:2056
	s_wait_dscnt 0x0
	v_sub_co_u32 v7, vcc_lo, v5, v7
	s_wait_alu 0xfffd
	v_sub_co_ci_u32_e64 v8, null, v6, v8, vcc_lo
	s_branch .LBB229_1
.LBB229_4:
	v_lshlrev_b32_e32 v0, 3, v0
	s_add_nc_u64 s[0:1], s[6:7], s[4:5]
	s_clause 0x2
	global_store_b64 v0, v[1:2], s[0:1]
	global_store_b64 v0, v[3:4], s[0:1] offset:2048
	global_store_b64 v0, v[5:6], s[0:1] offset:4096
	s_endpgm
	.section	.rodata,"a",@progbits
	.p2align	6, 0x0
	.amdhsa_kernel _Z6kernelI27subtract_right_partial_tileLj256ELj3ELb1EJPxPiS1_jEEvDpT3_
		.amdhsa_group_segment_fixed_size 4096
		.amdhsa_private_segment_fixed_size 0
		.amdhsa_kernarg_size 28
		.amdhsa_user_sgpr_count 2
		.amdhsa_user_sgpr_dispatch_ptr 0
		.amdhsa_user_sgpr_queue_ptr 0
		.amdhsa_user_sgpr_kernarg_segment_ptr 1
		.amdhsa_user_sgpr_dispatch_id 0
		.amdhsa_user_sgpr_private_segment_size 0
		.amdhsa_wavefront_size32 1
		.amdhsa_uses_dynamic_stack 0
		.amdhsa_enable_private_segment 0
		.amdhsa_system_sgpr_workgroup_id_x 1
		.amdhsa_system_sgpr_workgroup_id_y 0
		.amdhsa_system_sgpr_workgroup_id_z 0
		.amdhsa_system_sgpr_workgroup_info 0
		.amdhsa_system_vgpr_workitem_id 0
		.amdhsa_next_free_vgpr 17
		.amdhsa_next_free_sgpr 12
		.amdhsa_reserve_vcc 1
		.amdhsa_float_round_mode_32 0
		.amdhsa_float_round_mode_16_64 0
		.amdhsa_float_denorm_mode_32 3
		.amdhsa_float_denorm_mode_16_64 3
		.amdhsa_fp16_overflow 0
		.amdhsa_workgroup_processor_mode 1
		.amdhsa_memory_ordered 1
		.amdhsa_forward_progress 1
		.amdhsa_inst_pref_size 5
		.amdhsa_round_robin_scheduling 0
		.amdhsa_exception_fp_ieee_invalid_op 0
		.amdhsa_exception_fp_denorm_src 0
		.amdhsa_exception_fp_ieee_div_zero 0
		.amdhsa_exception_fp_ieee_overflow 0
		.amdhsa_exception_fp_ieee_underflow 0
		.amdhsa_exception_fp_ieee_inexact 0
		.amdhsa_exception_int_div_zero 0
	.end_amdhsa_kernel
	.section	.text._Z6kernelI27subtract_right_partial_tileLj256ELj3ELb1EJPxPiS1_jEEvDpT3_,"axG",@progbits,_Z6kernelI27subtract_right_partial_tileLj256ELj3ELb1EJPxPiS1_jEEvDpT3_,comdat
.Lfunc_end229:
	.size	_Z6kernelI27subtract_right_partial_tileLj256ELj3ELb1EJPxPiS1_jEEvDpT3_, .Lfunc_end229-_Z6kernelI27subtract_right_partial_tileLj256ELj3ELb1EJPxPiS1_jEEvDpT3_
                                        ; -- End function
	.set _Z6kernelI27subtract_right_partial_tileLj256ELj3ELb1EJPxPiS1_jEEvDpT3_.num_vgpr, 17
	.set _Z6kernelI27subtract_right_partial_tileLj256ELj3ELb1EJPxPiS1_jEEvDpT3_.num_agpr, 0
	.set _Z6kernelI27subtract_right_partial_tileLj256ELj3ELb1EJPxPiS1_jEEvDpT3_.numbered_sgpr, 12
	.set _Z6kernelI27subtract_right_partial_tileLj256ELj3ELb1EJPxPiS1_jEEvDpT3_.num_named_barrier, 0
	.set _Z6kernelI27subtract_right_partial_tileLj256ELj3ELb1EJPxPiS1_jEEvDpT3_.private_seg_size, 0
	.set _Z6kernelI27subtract_right_partial_tileLj256ELj3ELb1EJPxPiS1_jEEvDpT3_.uses_vcc, 1
	.set _Z6kernelI27subtract_right_partial_tileLj256ELj3ELb1EJPxPiS1_jEEvDpT3_.uses_flat_scratch, 0
	.set _Z6kernelI27subtract_right_partial_tileLj256ELj3ELb1EJPxPiS1_jEEvDpT3_.has_dyn_sized_stack, 0
	.set _Z6kernelI27subtract_right_partial_tileLj256ELj3ELb1EJPxPiS1_jEEvDpT3_.has_recursion, 0
	.set _Z6kernelI27subtract_right_partial_tileLj256ELj3ELb1EJPxPiS1_jEEvDpT3_.has_indirect_call, 0
	.section	.AMDGPU.csdata,"",@progbits
; Kernel info:
; codeLenInByte = 636
; TotalNumSgprs: 14
; NumVgprs: 17
; ScratchSize: 0
; MemoryBound: 0
; FloatMode: 240
; IeeeMode: 1
; LDSByteSize: 4096 bytes/workgroup (compile time only)
; SGPRBlocks: 0
; VGPRBlocks: 2
; NumSGPRsForWavesPerEU: 14
; NumVGPRsForWavesPerEU: 17
; Occupancy: 16
; WaveLimiterHint : 1
; COMPUTE_PGM_RSRC2:SCRATCH_EN: 0
; COMPUTE_PGM_RSRC2:USER_SGPR: 2
; COMPUTE_PGM_RSRC2:TRAP_HANDLER: 0
; COMPUTE_PGM_RSRC2:TGID_X_EN: 1
; COMPUTE_PGM_RSRC2:TGID_Y_EN: 0
; COMPUTE_PGM_RSRC2:TGID_Z_EN: 0
; COMPUTE_PGM_RSRC2:TIDIG_COMP_CNT: 0
	.section	.text._Z6kernelI27subtract_right_partial_tileLj256ELj4ELb1EJPxPiS1_jEEvDpT3_,"axG",@progbits,_Z6kernelI27subtract_right_partial_tileLj256ELj4ELb1EJPxPiS1_jEEvDpT3_,comdat
	.protected	_Z6kernelI27subtract_right_partial_tileLj256ELj4ELb1EJPxPiS1_jEEvDpT3_ ; -- Begin function _Z6kernelI27subtract_right_partial_tileLj256ELj4ELb1EJPxPiS1_jEEvDpT3_
	.globl	_Z6kernelI27subtract_right_partial_tileLj256ELj4ELb1EJPxPiS1_jEEvDpT3_
	.p2align	8
	.type	_Z6kernelI27subtract_right_partial_tileLj256ELj4ELb1EJPxPiS1_jEEvDpT3_,@function
_Z6kernelI27subtract_right_partial_tileLj256ELj4ELb1EJPxPiS1_jEEvDpT3_: ; @_Z6kernelI27subtract_right_partial_tileLj256ELj4ELb1EJPxPiS1_jEEvDpT3_
; %bb.0:
	s_load_b128 s[8:11], s[0:1], 0x0
	s_lshl_b32 s6, ttmp9, 10
	s_mov_b32 s7, 0
	v_lshlrev_b32_e32 v11, 3, v0
	s_lshl_b64 s[4:5], s[6:7], 3
	s_load_b96 s[0:2], s[0:1], 0x10
	s_wait_kmcnt 0x0
	s_add_nc_u64 s[8:9], s[8:9], s[4:5]
	s_clause 0x3
	global_load_b64 v[1:2], v11, s[8:9]
	global_load_b64 v[3:4], v11, s[8:9] offset:2048
	global_load_b64 v[5:6], v11, s[8:9] offset:4096
	;; [unrolled: 1-line block ×3, first 2 shown]
	s_cvt_f32_u32 s3, s2
	s_sub_co_i32 s6, 0, s2
	s_delay_alu instid0(SALU_CYCLE_2) | instskip(NEXT) | instid1(TRANS32_DEP_1)
	v_rcp_iflag_f32_e32 v9, s3
	v_readfirstlane_b32 s3, v9
	v_lshlrev_b32_e32 v9, 2, v0
	s_mul_f32 s3, s3, 0x4f7ffffe
	s_delay_alu instid0(VALU_DEP_1)
	v_or_b32_e32 v12, 1, v9
	v_or_b32_e32 v13, 2, v9
	;; [unrolled: 1-line block ×3, first 2 shown]
	s_wait_alu 0xfffe
	s_cvt_u32_f32 s3, s3
	v_add_nc_u32_e32 v15, 4, v9
	s_wait_alu 0xfffe
	s_delay_alu instid0(SALU_CYCLE_1) | instskip(NEXT) | instid1(SALU_CYCLE_1)
	s_mul_i32 s6, s6, s3
	s_mul_hi_u32 s8, s3, s6
	s_mov_b32 s6, ttmp9
	s_add_co_i32 s3, s3, s8
	s_lshl_b64 s[6:7], s[6:7], 2
	s_wait_alu 0xfffe
	s_lshr_b32 s8, s3, 22
	s_add_nc_u64 s[6:7], s[10:11], s[6:7]
	s_load_b32 s3, s[6:7], 0x0
	s_mul_i32 s7, s8, s2
	s_mov_b32 s6, s0
	s_sub_co_i32 s0, 0x400, s7
	s_add_co_i32 s7, s8, 1
	s_sub_co_i32 s9, s0, s2
	s_cmp_ge_u32 s0, s2
	s_cselect_b32 s7, s7, s8
	s_cselect_b32 s0, s9, s0
	s_add_co_i32 s8, s7, 1
	s_cmp_ge_u32 s0, s2
	s_cselect_b32 s0, s8, s7
	s_mov_b32 s7, s1
	s_add_co_i32 s1, s0, 1
	s_branch .LBB230_2
.LBB230_1:                              ;   in Loop: Header=BB230_2 Depth=1
	s_or_b32 exec_lo, exec_lo, s0
	v_cmp_gt_u32_e32 vcc_lo, s3, v12
	v_cmp_gt_u32_e64 s0, s3, v13
	s_add_co_i32 s2, s2, -1
	s_wait_loadcnt 0x0
	s_barrier_signal -1
	s_wait_alu 0xfffd
	v_dual_cndmask_b32 v16, 0, v4 :: v_dual_cndmask_b32 v17, 0, v3
	v_cmp_gt_u32_e32 vcc_lo, s3, v14
	v_cndmask_b32_e64 v19, 0, v5, s0
	v_cndmask_b32_e64 v18, 0, v6, s0
	s_barrier_wait -1
	v_sub_co_u32 v17, s0, v1, v17
	s_wait_alu 0xfffd
	v_dual_cndmask_b32 v20, 0, v8 :: v_dual_cndmask_b32 v21, 0, v7
	v_sub_co_u32 v19, vcc_lo, v3, v19
	s_wait_alu 0xf1ff
	v_sub_co_ci_u32_e64 v16, null, v2, v16, s0
	s_wait_alu 0xfffd
	v_sub_co_ci_u32_e64 v18, null, v4, v18, vcc_lo
	v_sub_co_u32 v21, vcc_lo, v5, v21
	s_wait_alu 0xfffd
	v_sub_co_ci_u32_e64 v20, null, v6, v20, vcc_lo
	v_add_co_u32 v1, vcc_lo, v17, v1
	s_wait_alu 0xfffd
	v_add_co_ci_u32_e64 v2, null, v16, v2, vcc_lo
	v_add_co_u32 v3, vcc_lo, v19, v3
	s_wait_alu 0xfffd
	v_add_co_ci_u32_e64 v4, null, v18, v4, vcc_lo
	v_add_co_u32 v5, vcc_lo, v21, v5
	s_wait_alu 0xfffd
	v_add_co_ci_u32_e64 v6, null, v20, v6, vcc_lo
	v_add_co_u32 v7, vcc_lo, v9, v7
	s_add_co_i32 s0, s1, s3
	s_wait_alu 0xfffd
	v_add_co_ci_u32_e64 v8, null, v10, v8, vcc_lo
	s_wait_alu 0xfffe
	s_and_b32 s3, s0, 0x3ff
	s_cmp_lg_u32 s2, 0
	global_inv scope:SCOPE_SE
	s_cbranch_scc0 .LBB230_4
.LBB230_2:                              ; =>This Inner Loop Header: Depth=1
	s_wait_loadcnt 0x0
	v_dual_mov_b32 v10, v8 :: v_dual_mov_b32 v9, v7
	s_mov_b32 s0, exec_lo
	ds_store_b64 v11, v[1:2] offset:2048
	s_wait_dscnt 0x0
	s_barrier_signal -1
	s_barrier_wait -1
	global_inv scope:SCOPE_SE
	s_wait_kmcnt 0x0
	s_wait_alu 0xfffe
	v_cmpx_gt_u32_e64 s3, v15
	s_cbranch_execz .LBB230_1
; %bb.3:                                ;   in Loop: Header=BB230_2 Depth=1
	ds_load_b64 v[9:10], v11 offset:2056
	s_wait_dscnt 0x0
	v_sub_co_u32 v9, vcc_lo, v7, v9
	s_wait_alu 0xfffd
	v_sub_co_ci_u32_e64 v10, null, v8, v10, vcc_lo
	s_branch .LBB230_1
.LBB230_4:
	v_lshlrev_b32_e32 v0, 3, v0
	s_add_nc_u64 s[0:1], s[6:7], s[4:5]
	s_clause 0x3
	global_store_b64 v0, v[1:2], s[0:1]
	global_store_b64 v0, v[3:4], s[0:1] offset:2048
	global_store_b64 v0, v[5:6], s[0:1] offset:4096
	;; [unrolled: 1-line block ×3, first 2 shown]
	s_endpgm
	.section	.rodata,"a",@progbits
	.p2align	6, 0x0
	.amdhsa_kernel _Z6kernelI27subtract_right_partial_tileLj256ELj4ELb1EJPxPiS1_jEEvDpT3_
		.amdhsa_group_segment_fixed_size 4096
		.amdhsa_private_segment_fixed_size 0
		.amdhsa_kernarg_size 28
		.amdhsa_user_sgpr_count 2
		.amdhsa_user_sgpr_dispatch_ptr 0
		.amdhsa_user_sgpr_queue_ptr 0
		.amdhsa_user_sgpr_kernarg_segment_ptr 1
		.amdhsa_user_sgpr_dispatch_id 0
		.amdhsa_user_sgpr_private_segment_size 0
		.amdhsa_wavefront_size32 1
		.amdhsa_uses_dynamic_stack 0
		.amdhsa_enable_private_segment 0
		.amdhsa_system_sgpr_workgroup_id_x 1
		.amdhsa_system_sgpr_workgroup_id_y 0
		.amdhsa_system_sgpr_workgroup_id_z 0
		.amdhsa_system_sgpr_workgroup_info 0
		.amdhsa_system_vgpr_workitem_id 0
		.amdhsa_next_free_vgpr 22
		.amdhsa_next_free_sgpr 12
		.amdhsa_reserve_vcc 1
		.amdhsa_float_round_mode_32 0
		.amdhsa_float_round_mode_16_64 0
		.amdhsa_float_denorm_mode_32 3
		.amdhsa_float_denorm_mode_16_64 3
		.amdhsa_fp16_overflow 0
		.amdhsa_workgroup_processor_mode 1
		.amdhsa_memory_ordered 1
		.amdhsa_forward_progress 1
		.amdhsa_inst_pref_size 6
		.amdhsa_round_robin_scheduling 0
		.amdhsa_exception_fp_ieee_invalid_op 0
		.amdhsa_exception_fp_denorm_src 0
		.amdhsa_exception_fp_ieee_div_zero 0
		.amdhsa_exception_fp_ieee_overflow 0
		.amdhsa_exception_fp_ieee_underflow 0
		.amdhsa_exception_fp_ieee_inexact 0
		.amdhsa_exception_int_div_zero 0
	.end_amdhsa_kernel
	.section	.text._Z6kernelI27subtract_right_partial_tileLj256ELj4ELb1EJPxPiS1_jEEvDpT3_,"axG",@progbits,_Z6kernelI27subtract_right_partial_tileLj256ELj4ELb1EJPxPiS1_jEEvDpT3_,comdat
.Lfunc_end230:
	.size	_Z6kernelI27subtract_right_partial_tileLj256ELj4ELb1EJPxPiS1_jEEvDpT3_, .Lfunc_end230-_Z6kernelI27subtract_right_partial_tileLj256ELj4ELb1EJPxPiS1_jEEvDpT3_
                                        ; -- End function
	.set _Z6kernelI27subtract_right_partial_tileLj256ELj4ELb1EJPxPiS1_jEEvDpT3_.num_vgpr, 22
	.set _Z6kernelI27subtract_right_partial_tileLj256ELj4ELb1EJPxPiS1_jEEvDpT3_.num_agpr, 0
	.set _Z6kernelI27subtract_right_partial_tileLj256ELj4ELb1EJPxPiS1_jEEvDpT3_.numbered_sgpr, 12
	.set _Z6kernelI27subtract_right_partial_tileLj256ELj4ELb1EJPxPiS1_jEEvDpT3_.num_named_barrier, 0
	.set _Z6kernelI27subtract_right_partial_tileLj256ELj4ELb1EJPxPiS1_jEEvDpT3_.private_seg_size, 0
	.set _Z6kernelI27subtract_right_partial_tileLj256ELj4ELb1EJPxPiS1_jEEvDpT3_.uses_vcc, 1
	.set _Z6kernelI27subtract_right_partial_tileLj256ELj4ELb1EJPxPiS1_jEEvDpT3_.uses_flat_scratch, 0
	.set _Z6kernelI27subtract_right_partial_tileLj256ELj4ELb1EJPxPiS1_jEEvDpT3_.has_dyn_sized_stack, 0
	.set _Z6kernelI27subtract_right_partial_tileLj256ELj4ELb1EJPxPiS1_jEEvDpT3_.has_recursion, 0
	.set _Z6kernelI27subtract_right_partial_tileLj256ELj4ELb1EJPxPiS1_jEEvDpT3_.has_indirect_call, 0
	.section	.AMDGPU.csdata,"",@progbits
; Kernel info:
; codeLenInByte = 680
; TotalNumSgprs: 14
; NumVgprs: 22
; ScratchSize: 0
; MemoryBound: 0
; FloatMode: 240
; IeeeMode: 1
; LDSByteSize: 4096 bytes/workgroup (compile time only)
; SGPRBlocks: 0
; VGPRBlocks: 2
; NumSGPRsForWavesPerEU: 14
; NumVGPRsForWavesPerEU: 22
; Occupancy: 16
; WaveLimiterHint : 1
; COMPUTE_PGM_RSRC2:SCRATCH_EN: 0
; COMPUTE_PGM_RSRC2:USER_SGPR: 2
; COMPUTE_PGM_RSRC2:TRAP_HANDLER: 0
; COMPUTE_PGM_RSRC2:TGID_X_EN: 1
; COMPUTE_PGM_RSRC2:TGID_Y_EN: 0
; COMPUTE_PGM_RSRC2:TGID_Z_EN: 0
; COMPUTE_PGM_RSRC2:TIDIG_COMP_CNT: 0
	.section	.text._Z6kernelI27subtract_right_partial_tileLj256ELj8ELb1EJPxPiS1_jEEvDpT3_,"axG",@progbits,_Z6kernelI27subtract_right_partial_tileLj256ELj8ELb1EJPxPiS1_jEEvDpT3_,comdat
	.protected	_Z6kernelI27subtract_right_partial_tileLj256ELj8ELb1EJPxPiS1_jEEvDpT3_ ; -- Begin function _Z6kernelI27subtract_right_partial_tileLj256ELj8ELb1EJPxPiS1_jEEvDpT3_
	.globl	_Z6kernelI27subtract_right_partial_tileLj256ELj8ELb1EJPxPiS1_jEEvDpT3_
	.p2align	8
	.type	_Z6kernelI27subtract_right_partial_tileLj256ELj8ELb1EJPxPiS1_jEEvDpT3_,@function
_Z6kernelI27subtract_right_partial_tileLj256ELj8ELb1EJPxPiS1_jEEvDpT3_: ; @_Z6kernelI27subtract_right_partial_tileLj256ELj8ELb1EJPxPiS1_jEEvDpT3_
; %bb.0:
	s_load_b128 s[8:11], s[0:1], 0x0
	s_lshl_b32 s6, ttmp9, 11
	s_mov_b32 s7, 0
	v_lshlrev_b32_e32 v19, 3, v0
	s_lshl_b64 s[4:5], s[6:7], 3
	s_load_b96 s[0:2], s[0:1], 0x10
	s_delay_alu instid0(VALU_DEP_1)
	v_or_b32_e32 v20, 1, v19
	v_or_b32_e32 v21, 2, v19
	;; [unrolled: 1-line block ×7, first 2 shown]
	v_add_nc_u32_e32 v27, 8, v19
	s_wait_kmcnt 0x0
	s_add_nc_u64 s[8:9], s[8:9], s[4:5]
	s_clause 0x7
	global_load_b64 v[15:16], v19, s[8:9]
	global_load_b64 v[13:14], v19, s[8:9] offset:2048
	global_load_b64 v[11:12], v19, s[8:9] offset:4096
	;; [unrolled: 1-line block ×7, first 2 shown]
	s_cvt_f32_u32 s3, s2
	s_sub_co_i32 s6, 0, s2
	s_delay_alu instid0(SALU_CYCLE_2) | instskip(NEXT) | instid1(TRANS32_DEP_1)
	v_rcp_iflag_f32_e32 v17, s3
	v_readfirstlane_b32 s3, v17
	s_mul_f32 s3, s3, 0x4f7ffffe
	s_wait_alu 0xfffe
	s_delay_alu instid0(SALU_CYCLE_2) | instskip(SKIP_1) | instid1(SALU_CYCLE_2)
	s_cvt_u32_f32 s3, s3
	s_wait_alu 0xfffe
	s_mul_i32 s6, s6, s3
	s_delay_alu instid0(SALU_CYCLE_1) | instskip(NEXT) | instid1(SALU_CYCLE_1)
	s_mul_hi_u32 s6, s3, s6
	s_add_co_i32 s3, s3, s6
	s_mov_b32 s6, ttmp9
	s_wait_alu 0xfffe
	s_lshr_b32 s8, s3, 21
	s_lshl_b64 s[6:7], s[6:7], 2
	s_mul_i32 s9, s8, s2
	s_add_nc_u64 s[6:7], s[10:11], s[6:7]
	s_load_b32 s3, s[6:7], 0x0
	s_sub_co_i32 s7, 0x800, s9
	s_add_co_i32 s9, s8, 1
	s_sub_co_i32 s10, s7, s2
	s_cmp_ge_u32 s7, s2
	s_mov_b32 s6, s0
	s_cselect_b32 s0, s9, s8
	s_cselect_b32 s7, s10, s7
	s_add_co_i32 s8, s0, 1
	s_cmp_ge_u32 s7, s2
	s_mov_b32 s7, s1
	s_cselect_b32 s8, s8, s0
	s_delay_alu instid0(SALU_CYCLE_1)
	s_add_co_i32 s8, s8, 1
	s_branch .LBB231_2
.LBB231_1:                              ;   in Loop: Header=BB231_2 Depth=1
	s_or_b32 exec_lo, exec_lo, s0
	v_cmp_gt_u32_e32 vcc_lo, s3, v20
	v_cmp_gt_u32_e64 s0, s3, v21
	s_add_co_i32 s2, s2, -1
	s_wait_loadcnt 0x0
	s_barrier_signal -1
	s_wait_alu 0xfffd
	v_dual_cndmask_b32 v28, 0, v14 :: v_dual_cndmask_b32 v29, 0, v13
	v_cmp_gt_u32_e32 vcc_lo, s3, v22
	v_cndmask_b32_e64 v31, 0, v11, s0
	v_cndmask_b32_e64 v30, 0, v12, s0
	s_barrier_wait -1
	v_sub_co_u32 v29, s0, v15, v29
	s_wait_alu 0xfffd
	v_dual_cndmask_b32 v32, 0, v10 :: v_dual_cndmask_b32 v33, 0, v9
	v_cmp_gt_u32_e32 vcc_lo, s3, v23
	s_wait_alu 0xf1ff
	v_sub_co_ci_u32_e64 v28, null, v16, v28, s0
	v_sub_co_u32 v31, s0, v13, v31
	s_wait_alu 0xfffd
	v_dual_cndmask_b32 v34, 0, v8 :: v_dual_cndmask_b32 v35, 0, v7
	v_sub_co_u32 v33, vcc_lo, v11, v33
	s_wait_alu 0xfffd
	v_sub_co_ci_u32_e64 v32, null, v12, v32, vcc_lo
	v_cmp_gt_u32_e32 vcc_lo, s3, v24
	s_wait_alu 0xf1ff
	v_sub_co_ci_u32_e64 v30, null, v14, v30, s0
	v_cmp_gt_u32_e64 s0, s3, v25
	v_sub_co_u32 v35, s1, v9, v35
	s_wait_alu 0xfffd
	v_dual_cndmask_b32 v36, 0, v6 :: v_dual_cndmask_b32 v37, 0, v5
	v_cmp_gt_u32_e32 vcc_lo, s3, v26
	s_wait_alu 0xf1ff
	v_cndmask_b32_e64 v39, 0, v3, s0
	v_cndmask_b32_e64 v38, 0, v4, s0
	v_sub_co_ci_u32_e64 v34, null, v10, v34, s1
	s_wait_alu 0xfffd
	v_dual_cndmask_b32 v40, 0, v2 :: v_dual_cndmask_b32 v41, 0, v1
	v_sub_co_u32 v39, vcc_lo, v5, v39
	s_wait_alu 0xfffd
	v_sub_co_ci_u32_e64 v38, null, v6, v38, vcc_lo
	s_delay_alu instid0(VALU_DEP_3)
	v_sub_co_u32 v41, vcc_lo, v3, v41
	s_wait_alu 0xfffd
	v_sub_co_ci_u32_e64 v40, null, v4, v40, vcc_lo
	v_add_co_u32 v15, vcc_lo, v29, v15
	s_wait_alu 0xfffd
	v_add_co_ci_u32_e64 v16, null, v28, v16, vcc_lo
	v_add_co_u32 v13, vcc_lo, v31, v13
	v_sub_co_u32 v37, s0, v7, v37
	s_wait_alu 0xfffd
	v_add_co_ci_u32_e64 v14, null, v30, v14, vcc_lo
	v_add_co_u32 v11, vcc_lo, v33, v11
	s_wait_alu 0xf1ff
	v_sub_co_ci_u32_e64 v36, null, v8, v36, s0
	s_wait_alu 0xfffd
	v_add_co_ci_u32_e64 v12, null, v32, v12, vcc_lo
	v_add_co_u32 v9, vcc_lo, v35, v9
	s_wait_alu 0xfffd
	v_add_co_ci_u32_e64 v10, null, v34, v10, vcc_lo
	v_add_co_u32 v7, vcc_lo, v37, v7
	s_wait_alu 0xfffd
	v_add_co_ci_u32_e64 v8, null, v36, v8, vcc_lo
	v_add_co_u32 v5, vcc_lo, v39, v5
	s_wait_alu 0xfffd
	v_add_co_ci_u32_e64 v6, null, v38, v6, vcc_lo
	v_add_co_u32 v3, vcc_lo, v41, v3
	s_wait_alu 0xfffd
	v_add_co_ci_u32_e64 v4, null, v40, v4, vcc_lo
	v_add_co_u32 v1, vcc_lo, v17, v1
	s_add_co_i32 s0, s8, s3
	s_wait_alu 0xfffd
	v_add_co_ci_u32_e64 v2, null, v18, v2, vcc_lo
	s_wait_alu 0xfffe
	s_and_b32 s3, s0, 0x7ff
	s_cmp_lg_u32 s2, 0
	global_inv scope:SCOPE_SE
	s_cbranch_scc0 .LBB231_4
.LBB231_2:                              ; =>This Inner Loop Header: Depth=1
	s_wait_loadcnt 0x0
	v_dual_mov_b32 v18, v2 :: v_dual_mov_b32 v17, v1
	s_mov_b32 s0, exec_lo
	ds_store_b64 v19, v[15:16] offset:2048
	s_wait_dscnt 0x0
	s_barrier_signal -1
	s_barrier_wait -1
	global_inv scope:SCOPE_SE
	s_wait_kmcnt 0x0
	s_wait_alu 0xfffe
	v_cmpx_gt_u32_e64 s3, v27
	s_cbranch_execz .LBB231_1
; %bb.3:                                ;   in Loop: Header=BB231_2 Depth=1
	ds_load_b64 v[17:18], v19 offset:2056
	s_wait_dscnt 0x0
	v_sub_co_u32 v17, vcc_lo, v1, v17
	s_wait_alu 0xfffd
	v_sub_co_ci_u32_e64 v18, null, v2, v18, vcc_lo
	s_branch .LBB231_1
.LBB231_4:
	v_lshlrev_b32_e32 v0, 3, v0
	s_add_nc_u64 s[0:1], s[6:7], s[4:5]
	s_clause 0x7
	global_store_b64 v0, v[15:16], s[0:1]
	global_store_b64 v0, v[13:14], s[0:1] offset:2048
	global_store_b64 v0, v[11:12], s[0:1] offset:4096
	;; [unrolled: 1-line block ×7, first 2 shown]
	s_endpgm
	.section	.rodata,"a",@progbits
	.p2align	6, 0x0
	.amdhsa_kernel _Z6kernelI27subtract_right_partial_tileLj256ELj8ELb1EJPxPiS1_jEEvDpT3_
		.amdhsa_group_segment_fixed_size 4096
		.amdhsa_private_segment_fixed_size 0
		.amdhsa_kernarg_size 28
		.amdhsa_user_sgpr_count 2
		.amdhsa_user_sgpr_dispatch_ptr 0
		.amdhsa_user_sgpr_queue_ptr 0
		.amdhsa_user_sgpr_kernarg_segment_ptr 1
		.amdhsa_user_sgpr_dispatch_id 0
		.amdhsa_user_sgpr_private_segment_size 0
		.amdhsa_wavefront_size32 1
		.amdhsa_uses_dynamic_stack 0
		.amdhsa_enable_private_segment 0
		.amdhsa_system_sgpr_workgroup_id_x 1
		.amdhsa_system_sgpr_workgroup_id_y 0
		.amdhsa_system_sgpr_workgroup_id_z 0
		.amdhsa_system_sgpr_workgroup_info 0
		.amdhsa_system_vgpr_workitem_id 0
		.amdhsa_next_free_vgpr 42
		.amdhsa_next_free_sgpr 12
		.amdhsa_reserve_vcc 1
		.amdhsa_float_round_mode_32 0
		.amdhsa_float_round_mode_16_64 0
		.amdhsa_float_denorm_mode_32 3
		.amdhsa_float_denorm_mode_16_64 3
		.amdhsa_fp16_overflow 0
		.amdhsa_workgroup_processor_mode 1
		.amdhsa_memory_ordered 1
		.amdhsa_forward_progress 1
		.amdhsa_inst_pref_size 9
		.amdhsa_round_robin_scheduling 0
		.amdhsa_exception_fp_ieee_invalid_op 0
		.amdhsa_exception_fp_denorm_src 0
		.amdhsa_exception_fp_ieee_div_zero 0
		.amdhsa_exception_fp_ieee_overflow 0
		.amdhsa_exception_fp_ieee_underflow 0
		.amdhsa_exception_fp_ieee_inexact 0
		.amdhsa_exception_int_div_zero 0
	.end_amdhsa_kernel
	.section	.text._Z6kernelI27subtract_right_partial_tileLj256ELj8ELb1EJPxPiS1_jEEvDpT3_,"axG",@progbits,_Z6kernelI27subtract_right_partial_tileLj256ELj8ELb1EJPxPiS1_jEEvDpT3_,comdat
.Lfunc_end231:
	.size	_Z6kernelI27subtract_right_partial_tileLj256ELj8ELb1EJPxPiS1_jEEvDpT3_, .Lfunc_end231-_Z6kernelI27subtract_right_partial_tileLj256ELj8ELb1EJPxPiS1_jEEvDpT3_
                                        ; -- End function
	.set _Z6kernelI27subtract_right_partial_tileLj256ELj8ELb1EJPxPiS1_jEEvDpT3_.num_vgpr, 42
	.set _Z6kernelI27subtract_right_partial_tileLj256ELj8ELb1EJPxPiS1_jEEvDpT3_.num_agpr, 0
	.set _Z6kernelI27subtract_right_partial_tileLj256ELj8ELb1EJPxPiS1_jEEvDpT3_.numbered_sgpr, 12
	.set _Z6kernelI27subtract_right_partial_tileLj256ELj8ELb1EJPxPiS1_jEEvDpT3_.num_named_barrier, 0
	.set _Z6kernelI27subtract_right_partial_tileLj256ELj8ELb1EJPxPiS1_jEEvDpT3_.private_seg_size, 0
	.set _Z6kernelI27subtract_right_partial_tileLj256ELj8ELb1EJPxPiS1_jEEvDpT3_.uses_vcc, 1
	.set _Z6kernelI27subtract_right_partial_tileLj256ELj8ELb1EJPxPiS1_jEEvDpT3_.uses_flat_scratch, 0
	.set _Z6kernelI27subtract_right_partial_tileLj256ELj8ELb1EJPxPiS1_jEEvDpT3_.has_dyn_sized_stack, 0
	.set _Z6kernelI27subtract_right_partial_tileLj256ELj8ELb1EJPxPiS1_jEEvDpT3_.has_recursion, 0
	.set _Z6kernelI27subtract_right_partial_tileLj256ELj8ELb1EJPxPiS1_jEEvDpT3_.has_indirect_call, 0
	.section	.AMDGPU.csdata,"",@progbits
; Kernel info:
; codeLenInByte = 1032
; TotalNumSgprs: 14
; NumVgprs: 42
; ScratchSize: 0
; MemoryBound: 0
; FloatMode: 240
; IeeeMode: 1
; LDSByteSize: 4096 bytes/workgroup (compile time only)
; SGPRBlocks: 0
; VGPRBlocks: 5
; NumSGPRsForWavesPerEU: 14
; NumVGPRsForWavesPerEU: 42
; Occupancy: 16
; WaveLimiterHint : 1
; COMPUTE_PGM_RSRC2:SCRATCH_EN: 0
; COMPUTE_PGM_RSRC2:USER_SGPR: 2
; COMPUTE_PGM_RSRC2:TRAP_HANDLER: 0
; COMPUTE_PGM_RSRC2:TGID_X_EN: 1
; COMPUTE_PGM_RSRC2:TGID_Y_EN: 0
; COMPUTE_PGM_RSRC2:TGID_Z_EN: 0
; COMPUTE_PGM_RSRC2:TIDIG_COMP_CNT: 0
	.section	.text._Z6kernelI27subtract_right_partial_tileLj256ELj16ELb1EJPxPiS1_jEEvDpT3_,"axG",@progbits,_Z6kernelI27subtract_right_partial_tileLj256ELj16ELb1EJPxPiS1_jEEvDpT3_,comdat
	.protected	_Z6kernelI27subtract_right_partial_tileLj256ELj16ELb1EJPxPiS1_jEEvDpT3_ ; -- Begin function _Z6kernelI27subtract_right_partial_tileLj256ELj16ELb1EJPxPiS1_jEEvDpT3_
	.globl	_Z6kernelI27subtract_right_partial_tileLj256ELj16ELb1EJPxPiS1_jEEvDpT3_
	.p2align	8
	.type	_Z6kernelI27subtract_right_partial_tileLj256ELj16ELb1EJPxPiS1_jEEvDpT3_,@function
_Z6kernelI27subtract_right_partial_tileLj256ELj16ELb1EJPxPiS1_jEEvDpT3_: ; @_Z6kernelI27subtract_right_partial_tileLj256ELj16ELb1EJPxPiS1_jEEvDpT3_
; %bb.0:
	s_load_b128 s[4:7], s[0:1], 0x0
	s_lshl_b32 s10, ttmp9, 12
	s_mov_b32 s11, 0
	v_lshlrev_b32_e32 v35, 3, v0
	s_lshl_b64 s[8:9], s[10:11], 3
	s_load_b96 s[0:2], s[0:1], 0x10
	s_mov_b32 s10, ttmp9
	s_delay_alu instid0(SALU_CYCLE_1)
	s_lshl_b64 s[10:11], s[10:11], 2
	s_wait_kmcnt 0x0
	s_add_nc_u64 s[4:5], s[4:5], s[8:9]
	s_add_nc_u64 s[6:7], s[6:7], s[10:11]
	s_clause 0xf
	global_load_b64 v[31:32], v35, s[4:5]
	global_load_b64 v[29:30], v35, s[4:5] offset:2048
	global_load_b64 v[27:28], v35, s[4:5] offset:4096
	;; [unrolled: 1-line block ×15, first 2 shown]
	s_cvt_f32_u32 s3, s2
	s_sub_co_i32 s4, 0, s2
	s_delay_alu instid0(SALU_CYCLE_2) | instskip(NEXT) | instid1(TRANS32_DEP_1)
	v_rcp_iflag_f32_e32 v33, s3
	v_readfirstlane_b32 s3, v33
	v_lshlrev_b32_e32 v33, 4, v0
	s_mul_f32 s3, s3, 0x4f7ffffe
	s_delay_alu instid0(VALU_DEP_1)
	v_or_b32_e32 v36, 1, v33
	v_or_b32_e32 v37, 2, v33
	;; [unrolled: 1-line block ×3, first 2 shown]
	s_wait_alu 0xfffe
	s_cvt_u32_f32 s3, s3
	v_or_b32_e32 v39, 4, v33
	v_or_b32_e32 v40, 5, v33
	;; [unrolled: 1-line block ×3, first 2 shown]
	s_wait_alu 0xfffe
	s_mul_i32 s4, s4, s3
	v_or_b32_e32 v42, 7, v33
	s_mul_hi_u32 s5, s3, s4
	s_mov_b32 s4, s0
	s_add_co_i32 s3, s3, s5
	v_or_b32_e32 v43, 8, v33
	s_wait_alu 0xfffe
	s_lshr_b32 s0, s3, 20
	s_load_b32 s3, s[6:7], 0x0
	s_mul_i32 s5, s0, s2
	s_add_co_i32 s6, s0, 1
	s_sub_co_i32 s5, 0x1000, s5
	v_or_b32_e32 v44, 9, v33
	s_sub_co_i32 s7, s5, s2
	s_cmp_ge_u32 s5, s2
	v_or_b32_e32 v45, 10, v33
	s_cselect_b32 s0, s6, s0
	s_cselect_b32 s5, s7, s5
	s_add_co_i32 s6, s0, 1
	s_cmp_ge_u32 s5, s2
	v_or_b32_e32 v46, 11, v33
	v_or_b32_e32 v47, 12, v33
	;; [unrolled: 1-line block ×5, first 2 shown]
	v_add_nc_u32_e32 v51, 16, v33
	s_cselect_b32 s6, s6, s0
	s_mov_b32 s5, s1
	s_add_co_i32 s6, s6, 1
	s_branch .LBB232_2
.LBB232_1:                              ;   in Loop: Header=BB232_2 Depth=1
	s_or_b32 exec_lo, exec_lo, s0
	v_cmp_gt_u32_e32 vcc_lo, s3, v36
	v_cmp_gt_u32_e64 s0, s3, v37
	s_add_co_i32 s2, s2, -1
	s_wait_loadcnt 0x0
	s_barrier_signal -1
	s_wait_alu 0xfffd
	v_dual_cndmask_b32 v52, 0, v30 :: v_dual_cndmask_b32 v53, 0, v29
	v_cmp_gt_u32_e32 vcc_lo, s3, v38
	v_cndmask_b32_e64 v55, 0, v27, s0
	v_cndmask_b32_e64 v54, 0, v28, s0
	s_barrier_wait -1
	v_sub_co_u32 v53, s0, v31, v53
	s_wait_alu 0xfffd
	v_dual_cndmask_b32 v56, 0, v26 :: v_dual_cndmask_b32 v57, 0, v25
	v_sub_co_u32 v55, vcc_lo, v29, v55
	s_wait_alu 0xf1ff
	v_sub_co_ci_u32_e64 v52, null, v32, v52, s0
	s_wait_alu 0xfffd
	v_sub_co_ci_u32_e64 v54, null, v30, v54, vcc_lo
	v_cmp_gt_u32_e32 vcc_lo, s3, v39
	v_cmp_gt_u32_e64 s0, s3, v40
	v_sub_co_u32 v57, s1, v27, v57
	s_wait_alu 0xf1ff
	v_sub_co_ci_u32_e64 v56, null, v28, v56, s1
	s_wait_alu 0xfffd
	v_dual_cndmask_b32 v58, 0, v24 :: v_dual_cndmask_b32 v59, 0, v23
	v_cndmask_b32_e64 v61, 0, v21, s0
	v_cmp_gt_u32_e32 vcc_lo, s3, v41
	v_cndmask_b32_e64 v60, 0, v22, s0
	global_inv scope:SCOPE_SE
	v_sub_co_u32 v59, s0, v25, v59
	s_wait_alu 0xfffd
	v_dual_cndmask_b32 v62, 0, v20 :: v_dual_cndmask_b32 v63, 0, v19
	v_sub_co_u32 v61, vcc_lo, v23, v61
	s_wait_alu 0xf1ff
	v_sub_co_ci_u32_e64 v58, null, v26, v58, s0
	s_wait_alu 0xfffd
	v_sub_co_ci_u32_e64 v60, null, v24, v60, vcc_lo
	v_cmp_gt_u32_e32 vcc_lo, s3, v42
	v_cmp_gt_u32_e64 s0, s3, v43
	v_sub_co_u32 v63, s1, v21, v63
	s_wait_alu 0xf1ff
	v_sub_co_ci_u32_e64 v62, null, v22, v62, s1
	s_wait_alu 0xfffd
	v_dual_cndmask_b32 v64, 0, v18 :: v_dual_cndmask_b32 v65, 0, v17
	v_cndmask_b32_e64 v67, 0, v15, s0
	v_cmp_gt_u32_e32 vcc_lo, s3, v44
	v_cndmask_b32_e64 v66, 0, v16, s0
	s_delay_alu instid0(VALU_DEP_4)
	v_sub_co_u32 v65, s0, v19, v65
	s_wait_alu 0xfffd
	v_dual_cndmask_b32 v68, 0, v14 :: v_dual_cndmask_b32 v69, 0, v13
	v_sub_co_u32 v67, vcc_lo, v17, v67
	s_wait_alu 0xf1ff
	v_sub_co_ci_u32_e64 v64, null, v20, v64, s0
	s_wait_alu 0xfffd
	v_sub_co_ci_u32_e64 v66, null, v18, v66, vcc_lo
	v_cmp_gt_u32_e32 vcc_lo, s3, v45
	v_cmp_gt_u32_e64 s0, s3, v46
	v_sub_co_u32 v69, s1, v15, v69
	s_wait_alu 0xf1ff
	v_sub_co_ci_u32_e64 v68, null, v16, v68, s1
	s_wait_alu 0xfffd
	v_dual_cndmask_b32 v70, 0, v12 :: v_dual_cndmask_b32 v71, 0, v11
	v_cndmask_b32_e64 v73, 0, v9, s0
	v_cmp_gt_u32_e32 vcc_lo, s3, v47
	v_cndmask_b32_e64 v72, 0, v10, s0
	s_delay_alu instid0(VALU_DEP_4)
	v_sub_co_u32 v71, s0, v13, v71
	s_wait_alu 0xfffd
	v_dual_cndmask_b32 v74, 0, v8 :: v_dual_cndmask_b32 v75, 0, v7
	v_sub_co_u32 v73, vcc_lo, v11, v73
	s_wait_alu 0xfffd
	v_sub_co_ci_u32_e64 v72, null, v12, v72, vcc_lo
	v_cmp_gt_u32_e32 vcc_lo, s3, v48
	s_wait_alu 0xf1ff
	v_sub_co_ci_u32_e64 v70, null, v14, v70, s0
	v_cmp_gt_u32_e64 s0, s3, v49
	v_sub_co_u32 v75, s1, v9, v75
	s_wait_alu 0xfffd
	v_dual_cndmask_b32 v76, 0, v6 :: v_dual_cndmask_b32 v77, 0, v5
	v_cmp_gt_u32_e32 vcc_lo, s3, v50
	s_wait_alu 0xf1ff
	v_cndmask_b32_e64 v79, 0, v3, s0
	v_cndmask_b32_e64 v78, 0, v4, s0
	v_sub_co_ci_u32_e64 v74, null, v10, v74, s1
	s_wait_alu 0xfffd
	v_dual_cndmask_b32 v80, 0, v2 :: v_dual_cndmask_b32 v81, 0, v1
	v_sub_co_u32 v79, vcc_lo, v5, v79
	s_wait_alu 0xfffd
	v_sub_co_ci_u32_e64 v78, null, v6, v78, vcc_lo
	s_delay_alu instid0(VALU_DEP_3)
	v_sub_co_u32 v81, vcc_lo, v3, v81
	s_wait_alu 0xfffd
	v_sub_co_ci_u32_e64 v80, null, v4, v80, vcc_lo
	v_add_co_u32 v31, vcc_lo, v53, v31
	s_wait_alu 0xfffd
	v_add_co_ci_u32_e64 v32, null, v52, v32, vcc_lo
	v_add_co_u32 v29, vcc_lo, v55, v29
	s_wait_alu 0xfffd
	v_add_co_ci_u32_e64 v30, null, v54, v30, vcc_lo
	v_add_co_u32 v27, vcc_lo, v57, v27
	s_wait_alu 0xfffd
	v_add_co_ci_u32_e64 v28, null, v56, v28, vcc_lo
	v_add_co_u32 v25, vcc_lo, v59, v25
	s_wait_alu 0xfffd
	v_add_co_ci_u32_e64 v26, null, v58, v26, vcc_lo
	v_add_co_u32 v23, vcc_lo, v61, v23
	s_wait_alu 0xfffd
	v_add_co_ci_u32_e64 v24, null, v60, v24, vcc_lo
	v_add_co_u32 v21, vcc_lo, v63, v21
	s_wait_alu 0xfffd
	v_add_co_ci_u32_e64 v22, null, v62, v22, vcc_lo
	v_add_co_u32 v19, vcc_lo, v65, v19
	s_wait_alu 0xfffd
	v_add_co_ci_u32_e64 v20, null, v64, v20, vcc_lo
	v_add_co_u32 v17, vcc_lo, v67, v17
	s_wait_alu 0xfffd
	v_add_co_ci_u32_e64 v18, null, v66, v18, vcc_lo
	v_add_co_u32 v15, vcc_lo, v69, v15
	s_wait_alu 0xfffd
	v_add_co_ci_u32_e64 v16, null, v68, v16, vcc_lo
	v_add_co_u32 v13, vcc_lo, v71, v13
	v_sub_co_u32 v77, s0, v7, v77
	s_wait_alu 0xfffd
	v_add_co_ci_u32_e64 v14, null, v70, v14, vcc_lo
	v_add_co_u32 v11, vcc_lo, v73, v11
	s_wait_alu 0xf1ff
	v_sub_co_ci_u32_e64 v76, null, v8, v76, s0
	s_wait_alu 0xfffd
	v_add_co_ci_u32_e64 v12, null, v72, v12, vcc_lo
	v_add_co_u32 v9, vcc_lo, v75, v9
	s_wait_alu 0xfffd
	v_add_co_ci_u32_e64 v10, null, v74, v10, vcc_lo
	v_add_co_u32 v7, vcc_lo, v77, v7
	s_wait_alu 0xfffd
	v_add_co_ci_u32_e64 v8, null, v76, v8, vcc_lo
	v_add_co_u32 v5, vcc_lo, v79, v5
	s_wait_alu 0xfffd
	v_add_co_ci_u32_e64 v6, null, v78, v6, vcc_lo
	v_add_co_u32 v3, vcc_lo, v81, v3
	s_wait_alu 0xfffd
	v_add_co_ci_u32_e64 v4, null, v80, v4, vcc_lo
	v_add_co_u32 v1, vcc_lo, v33, v1
	s_add_co_i32 s0, s6, s3
	s_wait_alu 0xfffd
	v_add_co_ci_u32_e64 v2, null, v34, v2, vcc_lo
	s_wait_alu 0xfffe
	s_and_b32 s3, s0, 0xfff
	s_cmp_lg_u32 s2, 0
	s_cbranch_scc0 .LBB232_4
.LBB232_2:                              ; =>This Inner Loop Header: Depth=1
	s_wait_loadcnt 0x0
	v_dual_mov_b32 v34, v2 :: v_dual_mov_b32 v33, v1
	s_mov_b32 s0, exec_lo
	ds_store_b64 v35, v[31:32] offset:2048
	s_wait_dscnt 0x0
	s_barrier_signal -1
	s_barrier_wait -1
	global_inv scope:SCOPE_SE
	s_wait_kmcnt 0x0
	s_wait_alu 0xfffe
	v_cmpx_gt_u32_e64 s3, v51
	s_cbranch_execz .LBB232_1
; %bb.3:                                ;   in Loop: Header=BB232_2 Depth=1
	ds_load_b64 v[33:34], v35 offset:2056
	s_wait_dscnt 0x0
	v_sub_co_u32 v33, vcc_lo, v1, v33
	s_wait_alu 0xfffd
	v_sub_co_ci_u32_e64 v34, null, v2, v34, vcc_lo
	s_branch .LBB232_1
.LBB232_4:
	v_lshlrev_b32_e32 v0, 3, v0
	s_add_nc_u64 s[0:1], s[4:5], s[8:9]
	s_clause 0xf
	global_store_b64 v0, v[31:32], s[0:1]
	global_store_b64 v0, v[29:30], s[0:1] offset:2048
	global_store_b64 v0, v[27:28], s[0:1] offset:4096
	;; [unrolled: 1-line block ×15, first 2 shown]
	s_endpgm
	.section	.rodata,"a",@progbits
	.p2align	6, 0x0
	.amdhsa_kernel _Z6kernelI27subtract_right_partial_tileLj256ELj16ELb1EJPxPiS1_jEEvDpT3_
		.amdhsa_group_segment_fixed_size 4096
		.amdhsa_private_segment_fixed_size 0
		.amdhsa_kernarg_size 28
		.amdhsa_user_sgpr_count 2
		.amdhsa_user_sgpr_dispatch_ptr 0
		.amdhsa_user_sgpr_queue_ptr 0
		.amdhsa_user_sgpr_kernarg_segment_ptr 1
		.amdhsa_user_sgpr_dispatch_id 0
		.amdhsa_user_sgpr_private_segment_size 0
		.amdhsa_wavefront_size32 1
		.amdhsa_uses_dynamic_stack 0
		.amdhsa_enable_private_segment 0
		.amdhsa_system_sgpr_workgroup_id_x 1
		.amdhsa_system_sgpr_workgroup_id_y 0
		.amdhsa_system_sgpr_workgroup_id_z 0
		.amdhsa_system_sgpr_workgroup_info 0
		.amdhsa_system_vgpr_workitem_id 0
		.amdhsa_next_free_vgpr 82
		.amdhsa_next_free_sgpr 12
		.amdhsa_reserve_vcc 1
		.amdhsa_float_round_mode_32 0
		.amdhsa_float_round_mode_16_64 0
		.amdhsa_float_denorm_mode_32 3
		.amdhsa_float_denorm_mode_16_64 3
		.amdhsa_fp16_overflow 0
		.amdhsa_workgroup_processor_mode 1
		.amdhsa_memory_ordered 1
		.amdhsa_forward_progress 1
		.amdhsa_inst_pref_size 14
		.amdhsa_round_robin_scheduling 0
		.amdhsa_exception_fp_ieee_invalid_op 0
		.amdhsa_exception_fp_denorm_src 0
		.amdhsa_exception_fp_ieee_div_zero 0
		.amdhsa_exception_fp_ieee_overflow 0
		.amdhsa_exception_fp_ieee_underflow 0
		.amdhsa_exception_fp_ieee_inexact 0
		.amdhsa_exception_int_div_zero 0
	.end_amdhsa_kernel
	.section	.text._Z6kernelI27subtract_right_partial_tileLj256ELj16ELb1EJPxPiS1_jEEvDpT3_,"axG",@progbits,_Z6kernelI27subtract_right_partial_tileLj256ELj16ELb1EJPxPiS1_jEEvDpT3_,comdat
.Lfunc_end232:
	.size	_Z6kernelI27subtract_right_partial_tileLj256ELj16ELb1EJPxPiS1_jEEvDpT3_, .Lfunc_end232-_Z6kernelI27subtract_right_partial_tileLj256ELj16ELb1EJPxPiS1_jEEvDpT3_
                                        ; -- End function
	.set _Z6kernelI27subtract_right_partial_tileLj256ELj16ELb1EJPxPiS1_jEEvDpT3_.num_vgpr, 82
	.set _Z6kernelI27subtract_right_partial_tileLj256ELj16ELb1EJPxPiS1_jEEvDpT3_.num_agpr, 0
	.set _Z6kernelI27subtract_right_partial_tileLj256ELj16ELb1EJPxPiS1_jEEvDpT3_.numbered_sgpr, 12
	.set _Z6kernelI27subtract_right_partial_tileLj256ELj16ELb1EJPxPiS1_jEEvDpT3_.num_named_barrier, 0
	.set _Z6kernelI27subtract_right_partial_tileLj256ELj16ELb1EJPxPiS1_jEEvDpT3_.private_seg_size, 0
	.set _Z6kernelI27subtract_right_partial_tileLj256ELj16ELb1EJPxPiS1_jEEvDpT3_.uses_vcc, 1
	.set _Z6kernelI27subtract_right_partial_tileLj256ELj16ELb1EJPxPiS1_jEEvDpT3_.uses_flat_scratch, 0
	.set _Z6kernelI27subtract_right_partial_tileLj256ELj16ELb1EJPxPiS1_jEEvDpT3_.has_dyn_sized_stack, 0
	.set _Z6kernelI27subtract_right_partial_tileLj256ELj16ELb1EJPxPiS1_jEEvDpT3_.has_recursion, 0
	.set _Z6kernelI27subtract_right_partial_tileLj256ELj16ELb1EJPxPiS1_jEEvDpT3_.has_indirect_call, 0
	.section	.AMDGPU.csdata,"",@progbits
; Kernel info:
; codeLenInByte = 1732
; TotalNumSgprs: 14
; NumVgprs: 82
; ScratchSize: 0
; MemoryBound: 0
; FloatMode: 240
; IeeeMode: 1
; LDSByteSize: 4096 bytes/workgroup (compile time only)
; SGPRBlocks: 0
; VGPRBlocks: 10
; NumSGPRsForWavesPerEU: 14
; NumVGPRsForWavesPerEU: 82
; Occupancy: 16
; WaveLimiterHint : 1
; COMPUTE_PGM_RSRC2:SCRATCH_EN: 0
; COMPUTE_PGM_RSRC2:USER_SGPR: 2
; COMPUTE_PGM_RSRC2:TRAP_HANDLER: 0
; COMPUTE_PGM_RSRC2:TGID_X_EN: 1
; COMPUTE_PGM_RSRC2:TGID_Y_EN: 0
; COMPUTE_PGM_RSRC2:TGID_Z_EN: 0
; COMPUTE_PGM_RSRC2:TIDIG_COMP_CNT: 0
	.section	.text._Z6kernelI27subtract_right_partial_tileLj256ELj32ELb1EJPxPiS1_jEEvDpT3_,"axG",@progbits,_Z6kernelI27subtract_right_partial_tileLj256ELj32ELb1EJPxPiS1_jEEvDpT3_,comdat
	.protected	_Z6kernelI27subtract_right_partial_tileLj256ELj32ELb1EJPxPiS1_jEEvDpT3_ ; -- Begin function _Z6kernelI27subtract_right_partial_tileLj256ELj32ELb1EJPxPiS1_jEEvDpT3_
	.globl	_Z6kernelI27subtract_right_partial_tileLj256ELj32ELb1EJPxPiS1_jEEvDpT3_
	.p2align	8
	.type	_Z6kernelI27subtract_right_partial_tileLj256ELj32ELb1EJPxPiS1_jEEvDpT3_,@function
_Z6kernelI27subtract_right_partial_tileLj256ELj32ELb1EJPxPiS1_jEEvDpT3_: ; @_Z6kernelI27subtract_right_partial_tileLj256ELj32ELb1EJPxPiS1_jEEvDpT3_
; %bb.0:
	s_load_b128 s[4:7], s[0:1], 0x0
	s_lshl_b32 s10, ttmp9, 13
	s_mov_b32 s11, 0
	v_lshlrev_b32_e32 v67, 3, v0
	s_lshl_b64 s[8:9], s[10:11], 3
	s_mov_b32 s10, ttmp9
	v_lshlrev_b32_e32 v66, 5, v0
	s_lshl_b64 s[10:11], s[10:11], 2
	s_delay_alu instid0(VALU_DEP_1)
	v_or_b32_e32 v68, 1, v66
	v_or_b32_e32 v69, 2, v66
	;; [unrolled: 1-line block ×9, first 2 shown]
	s_wait_kmcnt 0x0
	s_add_nc_u64 s[2:3], s[4:5], s[8:9]
	s_add_nc_u64 s[6:7], s[6:7], s[10:11]
	s_clause 0x1f
	global_load_b64 v[15:16], v67, s[2:3]
	global_load_b64 v[13:14], v67, s[2:3] offset:2048
	global_load_b64 v[11:12], v67, s[2:3] offset:4096
	;; [unrolled: 1-line block ×31, first 2 shown]
	s_load_b96 s[0:2], s[0:1], 0x10
	v_or_b32_e32 v77, 10, v66
	v_or_b32_e32 v78, 11, v66
	;; [unrolled: 1-line block ×19, first 2 shown]
	s_wait_kmcnt 0x0
	s_cvt_f32_u32 s3, s2
	s_sub_co_i32 s4, 0, s2
	v_or_b32_e32 v96, 29, v66
	v_or_b32_e32 v97, 30, v66
	v_rcp_iflag_f32_e32 v65, s3
	v_or_b32_e32 v98, 31, v66
	v_add_nc_u32_e32 v99, 32, v66
	s_delay_alu instid0(TRANS32_DEP_1) | instskip(SKIP_2) | instid1(SALU_CYCLE_2)
	v_readfirstlane_b32 s3, v65
	s_mul_f32 s3, s3, 0x4f7ffffe
	s_wait_alu 0xfffe
	s_cvt_u32_f32 s3, s3
	s_wait_alu 0xfffe
	s_delay_alu instid0(SALU_CYCLE_2) | instskip(NEXT) | instid1(SALU_CYCLE_1)
	s_mul_i32 s4, s4, s3
	s_mul_hi_u32 s4, s3, s4
	s_delay_alu instid0(SALU_CYCLE_1)
	s_add_co_i32 s3, s3, s4
	s_mov_b32 s4, s0
	s_wait_alu 0xfffe
	s_lshr_b32 s3, s3, 19
	s_wait_alu 0xfffe
	s_mul_i32 s5, s3, s2
	s_delay_alu instid0(SALU_CYCLE_1)
	s_sub_co_i32 s0, 0x2000, s5
	s_add_co_i32 s5, s3, 1
	s_sub_co_i32 s12, s0, s2
	s_cmp_ge_u32 s0, s2
	s_cselect_b32 s5, s5, s3
	s_load_b32 s3, s[6:7], 0x0
	s_cselect_b32 s0, s12, s0
	s_add_co_i32 s10, s5, 1
	s_cmp_ge_u32 s0, s2
	s_cselect_b32 s6, s10, s5
	s_mov_b32 s5, s1
	s_add_co_i32 s6, s6, 1
	s_branch .LBB233_2
.LBB233_1:                              ;   in Loop: Header=BB233_2 Depth=1
	s_or_b32 exec_lo, exec_lo, s0
	v_cmp_gt_u32_e32 vcc_lo, s3, v68
	v_cmp_gt_u32_e64 s0, s3, v69
	s_add_co_i32 s2, s2, -1
	s_wait_loadcnt 0x0
	s_barrier_signal -1
	s_wait_alu 0xfffd
	v_dual_cndmask_b32 v100, 0, v14 :: v_dual_cndmask_b32 v101, 0, v13
	v_cmp_gt_u32_e32 vcc_lo, s3, v70
	v_cndmask_b32_e64 v103, 0, v11, s0
	v_cndmask_b32_e64 v102, 0, v12, s0
	s_barrier_wait -1
	v_sub_co_u32 v101, s0, v15, v101
	s_wait_alu 0xfffd
	v_dual_cndmask_b32 v104, 0, v10 :: v_dual_cndmask_b32 v105, 0, v9
	v_sub_co_u32 v103, vcc_lo, v13, v103
	s_wait_alu 0xf1ff
	v_sub_co_ci_u32_e64 v100, null, v16, v100, s0
	s_wait_alu 0xfffd
	v_sub_co_ci_u32_e64 v102, null, v14, v102, vcc_lo
	v_cmp_gt_u32_e32 vcc_lo, s3, v71
	v_cmp_gt_u32_e64 s0, s3, v72
	v_sub_co_u32 v105, s1, v11, v105
	s_wait_alu 0xf1ff
	v_sub_co_ci_u32_e64 v104, null, v12, v104, s1
	s_wait_alu 0xfffd
	v_dual_cndmask_b32 v106, 0, v8 :: v_dual_cndmask_b32 v107, 0, v7
	v_cndmask_b32_e64 v109, 0, v5, s0
	v_cmp_gt_u32_e32 vcc_lo, s3, v73
	v_cndmask_b32_e64 v108, 0, v6, s0
	global_inv scope:SCOPE_SE
	v_sub_co_u32 v107, s0, v9, v107
	s_wait_alu 0xfffd
	v_dual_cndmask_b32 v110, 0, v4 :: v_dual_cndmask_b32 v111, 0, v3
	v_sub_co_u32 v109, vcc_lo, v7, v109
	s_wait_alu 0xf1ff
	v_sub_co_ci_u32_e64 v106, null, v10, v106, s0
	s_wait_alu 0xfffd
	v_sub_co_ci_u32_e64 v108, null, v8, v108, vcc_lo
	v_cmp_gt_u32_e32 vcc_lo, s3, v74
	v_cmp_gt_u32_e64 s0, s3, v75
	v_sub_co_u32 v111, s1, v5, v111
	s_wait_alu 0xf1ff
	v_sub_co_ci_u32_e64 v110, null, v6, v110, s1
	s_wait_alu 0xfffd
	v_dual_cndmask_b32 v112, 0, v2 :: v_dual_cndmask_b32 v113, 0, v1
	v_cndmask_b32_e64 v115, 0, v23, s0
	v_cmp_gt_u32_e32 vcc_lo, s3, v76
	v_cndmask_b32_e64 v114, 0, v24, s0
	s_delay_alu instid0(VALU_DEP_4)
	v_sub_co_u32 v113, s0, v3, v113
	s_wait_alu 0xfffd
	v_dual_cndmask_b32 v116, 0, v22 :: v_dual_cndmask_b32 v117, 0, v21
	v_sub_co_u32 v115, vcc_lo, v1, v115
	s_wait_alu 0xfffd
	v_sub_co_ci_u32_e64 v114, null, v2, v114, vcc_lo
	v_cmp_gt_u32_e32 vcc_lo, s3, v77
	s_wait_alu 0xf1ff
	v_sub_co_ci_u32_e64 v112, null, v4, v112, s0
	v_sub_co_u32 v117, s0, v23, v117
	s_wait_alu 0xf1ff
	v_sub_co_ci_u32_e64 v116, null, v24, v116, s0
	s_wait_alu 0xfffd
	v_cndmask_b32_e32 v118, 0, v20, vcc_lo
	v_add_co_u32 v15, s0, v101, v15
	v_cndmask_b32_e32 v101, 0, v19, vcc_lo
	v_cmp_gt_u32_e32 vcc_lo, s3, v78
	s_wait_alu 0xf1ff
	v_add_co_ci_u32_e64 v16, null, v100, v16, s0
	v_add_co_u32 v13, s0, v103, v13
	s_wait_alu 0xfffd
	v_dual_cndmask_b32 v100, 0, v18 :: v_dual_cndmask_b32 v103, 0, v17
	v_sub_co_u32 v101, vcc_lo, v21, v101
	s_wait_alu 0xfffd
	v_sub_co_ci_u32_e64 v118, null, v22, v118, vcc_lo
	s_delay_alu instid0(VALU_DEP_3)
	v_sub_co_u32 v103, vcc_lo, v19, v103
	s_wait_alu 0xfffd
	v_sub_co_ci_u32_e64 v100, null, v20, v100, vcc_lo
	v_cmp_gt_u32_e32 vcc_lo, s3, v79
	s_wait_alu 0xf1ff
	v_add_co_ci_u32_e64 v14, null, v102, v14, s0
	v_add_co_u32 v11, s0, v105, v11
	s_wait_alu 0xfffd
	v_dual_cndmask_b32 v102, 0, v30 :: v_dual_cndmask_b32 v105, 0, v29
	v_cmp_gt_u32_e32 vcc_lo, s3, v80
	s_wait_alu 0xf1ff
	v_add_co_ci_u32_e64 v12, null, v104, v12, s0
	v_add_co_u32 v9, s0, v107, v9
	s_wait_alu 0xfffd
	v_dual_cndmask_b32 v104, 0, v28 :: v_dual_cndmask_b32 v107, 0, v27
	v_sub_co_u32 v105, vcc_lo, v17, v105
	s_wait_alu 0xfffd
	v_sub_co_ci_u32_e64 v102, null, v18, v102, vcc_lo
	s_delay_alu instid0(VALU_DEP_3)
	v_sub_co_u32 v107, vcc_lo, v29, v107
	s_wait_alu 0xfffd
	v_sub_co_ci_u32_e64 v104, null, v30, v104, vcc_lo
	v_cmp_gt_u32_e32 vcc_lo, s3, v81
	s_wait_alu 0xf1ff
	v_add_co_ci_u32_e64 v10, null, v106, v10, s0
	v_add_co_u32 v7, s0, v109, v7
	s_wait_alu 0xfffd
	v_dual_cndmask_b32 v106, 0, v26 :: v_dual_cndmask_b32 v109, 0, v25
	;; [unrolled: 19-line block ×10, first 2 shown]
	v_cmp_gt_u32_e32 vcc_lo, s3, v98
	s_wait_alu 0xf1ff
	v_add_co_ci_u32_e64 v42, null, v100, v42, s0
	v_add_co_u32 v43, s0, v107, v43
	s_wait_alu 0xfffd
	v_dual_cndmask_b32 v100, 0, v52 :: v_dual_cndmask_b32 v107, 0, v51
	v_sub_co_u32 v105, vcc_lo, v55, v105
	s_wait_alu 0xfffd
	v_sub_co_ci_u32_e64 v118, null, v56, v118, vcc_lo
	s_delay_alu instid0(VALU_DEP_3)
	v_sub_co_u32 v107, vcc_lo, v53, v107
	s_wait_alu 0xfffd
	v_sub_co_ci_u32_e64 v100, null, v54, v100, vcc_lo
	v_add_co_u32 v45, vcc_lo, v109, v45
	s_wait_alu 0xfffd
	v_add_co_ci_u32_e64 v46, null, v104, v46, vcc_lo
	v_add_co_u32 v47, vcc_lo, v111, v47
	s_wait_alu 0xfffd
	v_add_co_ci_u32_e64 v48, null, v106, v48, vcc_lo
	v_add_co_u32 v49, vcc_lo, v113, v49
	s_wait_alu 0xfffd
	v_add_co_ci_u32_e64 v50, null, v108, v50, vcc_lo
	v_add_co_u32 v63, vcc_lo, v115, v63
	s_wait_alu 0xfffd
	v_add_co_ci_u32_e64 v64, null, v110, v64, vcc_lo
	v_add_co_u32 v61, vcc_lo, v117, v61
	s_wait_alu 0xfffd
	v_add_co_ci_u32_e64 v62, null, v112, v62, vcc_lo
	v_add_co_u32 v59, vcc_lo, v101, v59
	s_wait_alu 0xfffd
	v_add_co_ci_u32_e64 v60, null, v114, v60, vcc_lo
	v_add_co_u32 v57, vcc_lo, v103, v57
	s_wait_alu 0xfffd
	v_add_co_ci_u32_e64 v58, null, v116, v58, vcc_lo
	v_add_co_u32 v55, vcc_lo, v105, v55
	s_wait_alu 0xfffd
	v_add_co_ci_u32_e64 v56, null, v118, v56, vcc_lo
	v_add_co_u32 v53, vcc_lo, v107, v53
	s_wait_alu 0xfffd
	v_add_co_ci_u32_e64 v54, null, v100, v54, vcc_lo
	v_add_co_u32 v51, vcc_lo, v65, v51
	s_wait_alu 0xf1ff
	v_add_co_ci_u32_e64 v44, null, v102, v44, s0
	s_add_co_i32 s0, s6, s3
	s_wait_alu 0xfffd
	v_add_co_ci_u32_e64 v52, null, v66, v52, vcc_lo
	s_wait_alu 0xfffe
	s_and_b32 s3, s0, 0x1fff
	s_cmp_lg_u32 s2, 0
	s_cbranch_scc0 .LBB233_4
.LBB233_2:                              ; =>This Inner Loop Header: Depth=1
	s_wait_loadcnt 0x0
	v_dual_mov_b32 v66, v52 :: v_dual_mov_b32 v65, v51
	s_mov_b32 s0, exec_lo
	ds_store_b64 v67, v[15:16] offset:2048
	s_wait_dscnt 0x0
	s_barrier_signal -1
	s_barrier_wait -1
	global_inv scope:SCOPE_SE
	s_wait_kmcnt 0x0
	s_wait_alu 0xfffe
	v_cmpx_gt_u32_e64 s3, v99
	s_cbranch_execz .LBB233_1
; %bb.3:                                ;   in Loop: Header=BB233_2 Depth=1
	ds_load_b64 v[65:66], v67 offset:2056
	s_wait_dscnt 0x0
	v_sub_co_u32 v65, vcc_lo, v51, v65
	s_wait_alu 0xfffd
	v_sub_co_ci_u32_e64 v66, null, v52, v66, vcc_lo
	s_branch .LBB233_1
.LBB233_4:
	v_lshlrev_b32_e32 v0, 3, v0
	s_add_nc_u64 s[0:1], s[4:5], s[8:9]
	s_clause 0x1f
	global_store_b64 v0, v[15:16], s[0:1]
	global_store_b64 v0, v[13:14], s[0:1] offset:2048
	global_store_b64 v0, v[11:12], s[0:1] offset:4096
	;; [unrolled: 1-line block ×31, first 2 shown]
	s_nop 0
	s_sendmsg sendmsg(MSG_DEALLOC_VGPRS)
	s_endpgm
	.section	.rodata,"a",@progbits
	.p2align	6, 0x0
	.amdhsa_kernel _Z6kernelI27subtract_right_partial_tileLj256ELj32ELb1EJPxPiS1_jEEvDpT3_
		.amdhsa_group_segment_fixed_size 4096
		.amdhsa_private_segment_fixed_size 0
		.amdhsa_kernarg_size 28
		.amdhsa_user_sgpr_count 2
		.amdhsa_user_sgpr_dispatch_ptr 0
		.amdhsa_user_sgpr_queue_ptr 0
		.amdhsa_user_sgpr_kernarg_segment_ptr 1
		.amdhsa_user_sgpr_dispatch_id 0
		.amdhsa_user_sgpr_private_segment_size 0
		.amdhsa_wavefront_size32 1
		.amdhsa_uses_dynamic_stack 0
		.amdhsa_enable_private_segment 0
		.amdhsa_system_sgpr_workgroup_id_x 1
		.amdhsa_system_sgpr_workgroup_id_y 0
		.amdhsa_system_sgpr_workgroup_id_z 0
		.amdhsa_system_sgpr_workgroup_info 0
		.amdhsa_system_vgpr_workitem_id 0
		.amdhsa_next_free_vgpr 119
		.amdhsa_next_free_sgpr 13
		.amdhsa_reserve_vcc 1
		.amdhsa_float_round_mode_32 0
		.amdhsa_float_round_mode_16_64 0
		.amdhsa_float_denorm_mode_32 3
		.amdhsa_float_denorm_mode_16_64 3
		.amdhsa_fp16_overflow 0
		.amdhsa_workgroup_processor_mode 1
		.amdhsa_memory_ordered 1
		.amdhsa_forward_progress 1
		.amdhsa_inst_pref_size 25
		.amdhsa_round_robin_scheduling 0
		.amdhsa_exception_fp_ieee_invalid_op 0
		.amdhsa_exception_fp_denorm_src 0
		.amdhsa_exception_fp_ieee_div_zero 0
		.amdhsa_exception_fp_ieee_overflow 0
		.amdhsa_exception_fp_ieee_underflow 0
		.amdhsa_exception_fp_ieee_inexact 0
		.amdhsa_exception_int_div_zero 0
	.end_amdhsa_kernel
	.section	.text._Z6kernelI27subtract_right_partial_tileLj256ELj32ELb1EJPxPiS1_jEEvDpT3_,"axG",@progbits,_Z6kernelI27subtract_right_partial_tileLj256ELj32ELb1EJPxPiS1_jEEvDpT3_,comdat
.Lfunc_end233:
	.size	_Z6kernelI27subtract_right_partial_tileLj256ELj32ELb1EJPxPiS1_jEEvDpT3_, .Lfunc_end233-_Z6kernelI27subtract_right_partial_tileLj256ELj32ELb1EJPxPiS1_jEEvDpT3_
                                        ; -- End function
	.set _Z6kernelI27subtract_right_partial_tileLj256ELj32ELb1EJPxPiS1_jEEvDpT3_.num_vgpr, 119
	.set _Z6kernelI27subtract_right_partial_tileLj256ELj32ELb1EJPxPiS1_jEEvDpT3_.num_agpr, 0
	.set _Z6kernelI27subtract_right_partial_tileLj256ELj32ELb1EJPxPiS1_jEEvDpT3_.numbered_sgpr, 13
	.set _Z6kernelI27subtract_right_partial_tileLj256ELj32ELb1EJPxPiS1_jEEvDpT3_.num_named_barrier, 0
	.set _Z6kernelI27subtract_right_partial_tileLj256ELj32ELb1EJPxPiS1_jEEvDpT3_.private_seg_size, 0
	.set _Z6kernelI27subtract_right_partial_tileLj256ELj32ELb1EJPxPiS1_jEEvDpT3_.uses_vcc, 1
	.set _Z6kernelI27subtract_right_partial_tileLj256ELj32ELb1EJPxPiS1_jEEvDpT3_.uses_flat_scratch, 0
	.set _Z6kernelI27subtract_right_partial_tileLj256ELj32ELb1EJPxPiS1_jEEvDpT3_.has_dyn_sized_stack, 0
	.set _Z6kernelI27subtract_right_partial_tileLj256ELj32ELb1EJPxPiS1_jEEvDpT3_.has_recursion, 0
	.set _Z6kernelI27subtract_right_partial_tileLj256ELj32ELb1EJPxPiS1_jEEvDpT3_.has_indirect_call, 0
	.section	.AMDGPU.csdata,"",@progbits
; Kernel info:
; codeLenInByte = 3120
; TotalNumSgprs: 15
; NumVgprs: 119
; ScratchSize: 0
; MemoryBound: 0
; FloatMode: 240
; IeeeMode: 1
; LDSByteSize: 4096 bytes/workgroup (compile time only)
; SGPRBlocks: 0
; VGPRBlocks: 14
; NumSGPRsForWavesPerEU: 15
; NumVGPRsForWavesPerEU: 119
; Occupancy: 12
; WaveLimiterHint : 1
; COMPUTE_PGM_RSRC2:SCRATCH_EN: 0
; COMPUTE_PGM_RSRC2:USER_SGPR: 2
; COMPUTE_PGM_RSRC2:TRAP_HANDLER: 0
; COMPUTE_PGM_RSRC2:TGID_X_EN: 1
; COMPUTE_PGM_RSRC2:TGID_Y_EN: 0
; COMPUTE_PGM_RSRC2:TGID_Z_EN: 0
; COMPUTE_PGM_RSRC2:TIDIG_COMP_CNT: 0
	.section	.text._Z6kernelI27subtract_right_partial_tileLj256ELj1ELb1EJPdPiS1_jEEvDpT3_,"axG",@progbits,_Z6kernelI27subtract_right_partial_tileLj256ELj1ELb1EJPdPiS1_jEEvDpT3_,comdat
	.protected	_Z6kernelI27subtract_right_partial_tileLj256ELj1ELb1EJPdPiS1_jEEvDpT3_ ; -- Begin function _Z6kernelI27subtract_right_partial_tileLj256ELj1ELb1EJPdPiS1_jEEvDpT3_
	.globl	_Z6kernelI27subtract_right_partial_tileLj256ELj1ELb1EJPdPiS1_jEEvDpT3_
	.p2align	8
	.type	_Z6kernelI27subtract_right_partial_tileLj256ELj1ELb1EJPdPiS1_jEEvDpT3_,@function
_Z6kernelI27subtract_right_partial_tileLj256ELj1ELb1EJPdPiS1_jEEvDpT3_: ; @_Z6kernelI27subtract_right_partial_tileLj256ELj1ELb1EJPdPiS1_jEEvDpT3_
; %bb.0:
	s_load_b128 s[8:11], s[0:1], 0x0
	s_lshl_b32 s6, ttmp9, 8
	s_mov_b32 s7, 0
	v_lshlrev_b32_e32 v5, 3, v0
	s_lshl_b64 s[4:5], s[6:7], 3
	s_load_b96 s[0:2], s[0:1], 0x10
	s_mov_b32 s6, ttmp9
	v_add_nc_u32_e32 v6, 1, v0
	s_lshl_b64 s[6:7], s[6:7], 2
	s_wait_kmcnt 0x0
	s_add_nc_u64 s[8:9], s[8:9], s[4:5]
	s_add_nc_u64 s[6:7], s[10:11], s[6:7]
	global_load_b64 v[1:2], v5, s[8:9]
	s_cvt_f32_u32 s3, s2
	s_delay_alu instid0(SALU_CYCLE_3) | instskip(NEXT) | instid1(TRANS32_DEP_1)
	v_rcp_iflag_f32_e32 v3, s3
	v_readfirstlane_b32 s3, v3
	s_mul_f32 s3, s3, 0x4f7ffffe
	s_wait_alu 0xfffe
	s_delay_alu instid0(SALU_CYCLE_2) | instskip(SKIP_2) | instid1(SALU_CYCLE_1)
	s_cvt_u32_f32 s8, s3
	s_sub_co_i32 s3, 0, s2
	s_wait_alu 0xfffe
	s_mul_i32 s3, s3, s8
	s_wait_alu 0xfffe
	s_mul_hi_u32 s9, s8, s3
	s_load_b32 s3, s[6:7], 0x0
	s_add_co_i32 s8, s8, s9
	s_delay_alu instid0(SALU_CYCLE_1) | instskip(NEXT) | instid1(SALU_CYCLE_1)
	s_lshr_b32 s6, s8, 24
	s_mul_i32 s7, s6, s2
	s_add_co_i32 s8, s6, 1
	s_sub_co_i32 s7, 0x100, s7
	s_delay_alu instid0(SALU_CYCLE_1)
	s_sub_co_i32 s9, s7, s2
	s_cmp_ge_u32 s7, s2
	s_cselect_b32 s6, s8, s6
	s_cselect_b32 s7, s9, s7
	s_add_co_i32 s8, s6, 1
	s_cmp_ge_u32 s7, s2
	s_cselect_b32 s6, s8, s6
	s_delay_alu instid0(SALU_CYCLE_1)
	s_add_co_i32 s6, s6, 1
	s_branch .LBB234_2
.LBB234_1:                              ;   in Loop: Header=BB234_2 Depth=1
	s_or_b32 exec_lo, exec_lo, s7
	s_delay_alu instid0(VALU_DEP_1)
	v_add_f64_e32 v[1:2], v[1:2], v[3:4]
	s_add_co_i32 s3, s6, s3
	s_add_co_i32 s2, s2, -1
	s_wait_alu 0xfffe
	s_and_b32 s3, s3, 0xff
	s_cmp_lg_u32 s2, 0
	s_wait_loadcnt 0x0
	s_barrier_signal -1
	s_barrier_wait -1
	global_inv scope:SCOPE_SE
	s_cbranch_scc0 .LBB234_4
.LBB234_2:                              ; =>This Inner Loop Header: Depth=1
	s_wait_loadcnt 0x0
	v_dual_mov_b32 v4, v2 :: v_dual_mov_b32 v3, v1
	s_mov_b32 s7, exec_lo
	ds_store_b64 v5, v[1:2] offset:2048
	s_wait_dscnt 0x0
	s_barrier_signal -1
	s_barrier_wait -1
	global_inv scope:SCOPE_SE
	s_wait_kmcnt 0x0
	s_wait_alu 0xfffe
	v_cmpx_gt_u32_e64 s3, v6
	s_cbranch_execz .LBB234_1
; %bb.3:                                ;   in Loop: Header=BB234_2 Depth=1
	ds_load_b64 v[3:4], v5 offset:2056
	s_wait_dscnt 0x0
	v_add_f64_e64 v[3:4], v[1:2], -v[3:4]
	s_branch .LBB234_1
.LBB234_4:
	v_lshlrev_b32_e32 v0, 3, v0
	s_add_nc_u64 s[0:1], s[0:1], s[4:5]
	global_store_b64 v0, v[1:2], s[0:1]
	s_endpgm
	.section	.rodata,"a",@progbits
	.p2align	6, 0x0
	.amdhsa_kernel _Z6kernelI27subtract_right_partial_tileLj256ELj1ELb1EJPdPiS1_jEEvDpT3_
		.amdhsa_group_segment_fixed_size 4096
		.amdhsa_private_segment_fixed_size 0
		.amdhsa_kernarg_size 28
		.amdhsa_user_sgpr_count 2
		.amdhsa_user_sgpr_dispatch_ptr 0
		.amdhsa_user_sgpr_queue_ptr 0
		.amdhsa_user_sgpr_kernarg_segment_ptr 1
		.amdhsa_user_sgpr_dispatch_id 0
		.amdhsa_user_sgpr_private_segment_size 0
		.amdhsa_wavefront_size32 1
		.amdhsa_uses_dynamic_stack 0
		.amdhsa_enable_private_segment 0
		.amdhsa_system_sgpr_workgroup_id_x 1
		.amdhsa_system_sgpr_workgroup_id_y 0
		.amdhsa_system_sgpr_workgroup_id_z 0
		.amdhsa_system_sgpr_workgroup_info 0
		.amdhsa_system_vgpr_workitem_id 0
		.amdhsa_next_free_vgpr 7
		.amdhsa_next_free_sgpr 12
		.amdhsa_reserve_vcc 0
		.amdhsa_float_round_mode_32 0
		.amdhsa_float_round_mode_16_64 0
		.amdhsa_float_denorm_mode_32 3
		.amdhsa_float_denorm_mode_16_64 3
		.amdhsa_fp16_overflow 0
		.amdhsa_workgroup_processor_mode 1
		.amdhsa_memory_ordered 1
		.amdhsa_forward_progress 1
		.amdhsa_inst_pref_size 3
		.amdhsa_round_robin_scheduling 0
		.amdhsa_exception_fp_ieee_invalid_op 0
		.amdhsa_exception_fp_denorm_src 0
		.amdhsa_exception_fp_ieee_div_zero 0
		.amdhsa_exception_fp_ieee_overflow 0
		.amdhsa_exception_fp_ieee_underflow 0
		.amdhsa_exception_fp_ieee_inexact 0
		.amdhsa_exception_int_div_zero 0
	.end_amdhsa_kernel
	.section	.text._Z6kernelI27subtract_right_partial_tileLj256ELj1ELb1EJPdPiS1_jEEvDpT3_,"axG",@progbits,_Z6kernelI27subtract_right_partial_tileLj256ELj1ELb1EJPdPiS1_jEEvDpT3_,comdat
.Lfunc_end234:
	.size	_Z6kernelI27subtract_right_partial_tileLj256ELj1ELb1EJPdPiS1_jEEvDpT3_, .Lfunc_end234-_Z6kernelI27subtract_right_partial_tileLj256ELj1ELb1EJPdPiS1_jEEvDpT3_
                                        ; -- End function
	.set _Z6kernelI27subtract_right_partial_tileLj256ELj1ELb1EJPdPiS1_jEEvDpT3_.num_vgpr, 7
	.set _Z6kernelI27subtract_right_partial_tileLj256ELj1ELb1EJPdPiS1_jEEvDpT3_.num_agpr, 0
	.set _Z6kernelI27subtract_right_partial_tileLj256ELj1ELb1EJPdPiS1_jEEvDpT3_.numbered_sgpr, 12
	.set _Z6kernelI27subtract_right_partial_tileLj256ELj1ELb1EJPdPiS1_jEEvDpT3_.num_named_barrier, 0
	.set _Z6kernelI27subtract_right_partial_tileLj256ELj1ELb1EJPdPiS1_jEEvDpT3_.private_seg_size, 0
	.set _Z6kernelI27subtract_right_partial_tileLj256ELj1ELb1EJPdPiS1_jEEvDpT3_.uses_vcc, 0
	.set _Z6kernelI27subtract_right_partial_tileLj256ELj1ELb1EJPdPiS1_jEEvDpT3_.uses_flat_scratch, 0
	.set _Z6kernelI27subtract_right_partial_tileLj256ELj1ELb1EJPdPiS1_jEEvDpT3_.has_dyn_sized_stack, 0
	.set _Z6kernelI27subtract_right_partial_tileLj256ELj1ELb1EJPdPiS1_jEEvDpT3_.has_recursion, 0
	.set _Z6kernelI27subtract_right_partial_tileLj256ELj1ELb1EJPdPiS1_jEEvDpT3_.has_indirect_call, 0
	.section	.AMDGPU.csdata,"",@progbits
; Kernel info:
; codeLenInByte = 384
; TotalNumSgprs: 12
; NumVgprs: 7
; ScratchSize: 0
; MemoryBound: 0
; FloatMode: 240
; IeeeMode: 1
; LDSByteSize: 4096 bytes/workgroup (compile time only)
; SGPRBlocks: 0
; VGPRBlocks: 0
; NumSGPRsForWavesPerEU: 12
; NumVGPRsForWavesPerEU: 7
; Occupancy: 16
; WaveLimiterHint : 0
; COMPUTE_PGM_RSRC2:SCRATCH_EN: 0
; COMPUTE_PGM_RSRC2:USER_SGPR: 2
; COMPUTE_PGM_RSRC2:TRAP_HANDLER: 0
; COMPUTE_PGM_RSRC2:TGID_X_EN: 1
; COMPUTE_PGM_RSRC2:TGID_Y_EN: 0
; COMPUTE_PGM_RSRC2:TGID_Z_EN: 0
; COMPUTE_PGM_RSRC2:TIDIG_COMP_CNT: 0
	.section	.text._Z6kernelI27subtract_right_partial_tileLj256ELj3ELb1EJPdPiS1_jEEvDpT3_,"axG",@progbits,_Z6kernelI27subtract_right_partial_tileLj256ELj3ELb1EJPdPiS1_jEEvDpT3_,comdat
	.protected	_Z6kernelI27subtract_right_partial_tileLj256ELj3ELb1EJPdPiS1_jEEvDpT3_ ; -- Begin function _Z6kernelI27subtract_right_partial_tileLj256ELj3ELb1EJPdPiS1_jEEvDpT3_
	.globl	_Z6kernelI27subtract_right_partial_tileLj256ELj3ELb1EJPdPiS1_jEEvDpT3_
	.p2align	8
	.type	_Z6kernelI27subtract_right_partial_tileLj256ELj3ELb1EJPdPiS1_jEEvDpT3_,@function
_Z6kernelI27subtract_right_partial_tileLj256ELj3ELb1EJPdPiS1_jEEvDpT3_: ; @_Z6kernelI27subtract_right_partial_tileLj256ELj3ELb1EJPdPiS1_jEEvDpT3_
; %bb.0:
	s_load_b128 s[8:11], s[0:1], 0x0
	s_mul_i32 s6, ttmp9, 0x300
	s_mov_b32 s7, 0
	v_lshlrev_b32_e32 v9, 3, v0
	s_lshl_b64 s[4:5], s[6:7], 3
	s_load_b96 s[0:2], s[0:1], 0x10
	v_mad_u32_u24 v10, v0, 3, 1
	v_mad_u32_u24 v11, v0, 3, 2
	;; [unrolled: 1-line block ×3, first 2 shown]
	s_wait_kmcnt 0x0
	s_add_nc_u64 s[8:9], s[8:9], s[4:5]
	s_clause 0x2
	global_load_b64 v[1:2], v9, s[8:9]
	global_load_b64 v[3:4], v9, s[8:9] offset:2048
	global_load_b64 v[5:6], v9, s[8:9] offset:4096
	s_cvt_f32_u32 s3, s2
	s_sub_co_i32 s6, 0, s2
	s_delay_alu instid0(SALU_CYCLE_2) | instskip(NEXT) | instid1(TRANS32_DEP_1)
	v_rcp_iflag_f32_e32 v7, s3
	v_readfirstlane_b32 s3, v7
	s_mul_f32 s3, s3, 0x4f7ffffe
	s_wait_alu 0xfffe
	s_delay_alu instid0(SALU_CYCLE_2) | instskip(SKIP_1) | instid1(SALU_CYCLE_2)
	s_cvt_u32_f32 s3, s3
	s_wait_alu 0xfffe
	s_mul_i32 s8, s6, s3
	s_mov_b32 s6, ttmp9
	s_mul_hi_u32 s8, s3, s8
	s_lshl_b64 s[6:7], s[6:7], 2
	s_add_co_i32 s8, s3, s8
	s_add_nc_u64 s[6:7], s[10:11], s[6:7]
	s_load_b32 s3, s[6:7], 0x0
	s_mul_hi_u32 s7, s8, 0x300
	s_delay_alu instid0(SALU_CYCLE_1)
	s_mul_i32 s6, s7, s2
	s_add_co_i32 s9, s7, 1
	s_sub_co_i32 s8, 0x300, s6
	s_mov_b32 s6, s0
	s_sub_co_i32 s10, s8, s2
	s_cmp_ge_u32 s8, s2
	s_cselect_b32 s0, s9, s7
	s_cselect_b32 s7, s10, s8
	s_add_co_i32 s8, s0, 1
	s_cmp_ge_u32 s7, s2
	s_mov_b32 s7, s1
	s_cselect_b32 s0, s8, s0
	s_delay_alu instid0(SALU_CYCLE_1)
	s_add_co_i32 s1, s0, 1
	s_branch .LBB235_2
.LBB235_1:                              ;   in Loop: Header=BB235_2 Depth=1
	s_or_b32 exec_lo, exec_lo, s0
	v_add_f64_e64 v[13:14], v[1:2], -v[3:4]
	v_add_f64_e64 v[15:16], v[3:4], -v[5:6]
	v_cmp_gt_u32_e32 vcc_lo, s3, v10
	v_cmp_gt_u32_e64 s0, s3, v11
	v_add_f64_e32 v[5:6], v[5:6], v[7:8]
	s_add_co_i32 s2, s2, -1
	s_wait_loadcnt 0x0
	s_barrier_signal -1
	s_barrier_wait -1
	global_inv scope:SCOPE_SE
	s_wait_alu 0xfffd
	v_dual_cndmask_b32 v14, v2, v14 :: v_dual_cndmask_b32 v13, v1, v13
	v_cndmask_b32_e64 v16, v4, v16, s0
	v_cndmask_b32_e64 v15, v3, v15, s0
	s_add_co_i32 s0, s1, s3
	s_delay_alu instid0(VALU_DEP_3)
	v_add_f64_e32 v[1:2], v[1:2], v[13:14]
	s_wait_alu 0xfffe
	s_mul_hi_u32 s3, s0, 0xaaaaaaab
	v_add_f64_e32 v[3:4], v[3:4], v[15:16]
	s_wait_alu 0xfffe
	s_lshr_b32 s3, s3, 9
	s_wait_alu 0xfffe
	s_mulk_i32 s3, 0x300
	s_wait_alu 0xfffe
	s_sub_co_i32 s3, s0, s3
	s_cmp_lg_u32 s2, 0
	s_cbranch_scc0 .LBB235_4
.LBB235_2:                              ; =>This Inner Loop Header: Depth=1
	s_wait_loadcnt 0x0
	v_dual_mov_b32 v8, v6 :: v_dual_mov_b32 v7, v5
	s_mov_b32 s0, exec_lo
	ds_store_b64 v9, v[1:2] offset:2048
	s_wait_dscnt 0x0
	s_barrier_signal -1
	s_barrier_wait -1
	global_inv scope:SCOPE_SE
	s_wait_kmcnt 0x0
	s_wait_alu 0xfffe
	v_cmpx_gt_u32_e64 s3, v12
	s_cbranch_execz .LBB235_1
; %bb.3:                                ;   in Loop: Header=BB235_2 Depth=1
	ds_load_b64 v[7:8], v9 offset:2056
	s_wait_dscnt 0x0
	v_add_f64_e64 v[7:8], v[5:6], -v[7:8]
	s_branch .LBB235_1
.LBB235_4:
	v_lshlrev_b32_e32 v0, 3, v0
	s_add_nc_u64 s[0:1], s[6:7], s[4:5]
	s_clause 0x2
	global_store_b64 v0, v[1:2], s[0:1]
	global_store_b64 v0, v[3:4], s[0:1] offset:2048
	global_store_b64 v0, v[5:6], s[0:1] offset:4096
	s_endpgm
	.section	.rodata,"a",@progbits
	.p2align	6, 0x0
	.amdhsa_kernel _Z6kernelI27subtract_right_partial_tileLj256ELj3ELb1EJPdPiS1_jEEvDpT3_
		.amdhsa_group_segment_fixed_size 4096
		.amdhsa_private_segment_fixed_size 0
		.amdhsa_kernarg_size 28
		.amdhsa_user_sgpr_count 2
		.amdhsa_user_sgpr_dispatch_ptr 0
		.amdhsa_user_sgpr_queue_ptr 0
		.amdhsa_user_sgpr_kernarg_segment_ptr 1
		.amdhsa_user_sgpr_dispatch_id 0
		.amdhsa_user_sgpr_private_segment_size 0
		.amdhsa_wavefront_size32 1
		.amdhsa_uses_dynamic_stack 0
		.amdhsa_enable_private_segment 0
		.amdhsa_system_sgpr_workgroup_id_x 1
		.amdhsa_system_sgpr_workgroup_id_y 0
		.amdhsa_system_sgpr_workgroup_id_z 0
		.amdhsa_system_sgpr_workgroup_info 0
		.amdhsa_system_vgpr_workitem_id 0
		.amdhsa_next_free_vgpr 17
		.amdhsa_next_free_sgpr 12
		.amdhsa_reserve_vcc 1
		.amdhsa_float_round_mode_32 0
		.amdhsa_float_round_mode_16_64 0
		.amdhsa_float_denorm_mode_32 3
		.amdhsa_float_denorm_mode_16_64 3
		.amdhsa_fp16_overflow 0
		.amdhsa_workgroup_processor_mode 1
		.amdhsa_memory_ordered 1
		.amdhsa_forward_progress 1
		.amdhsa_inst_pref_size 5
		.amdhsa_round_robin_scheduling 0
		.amdhsa_exception_fp_ieee_invalid_op 0
		.amdhsa_exception_fp_denorm_src 0
		.amdhsa_exception_fp_ieee_div_zero 0
		.amdhsa_exception_fp_ieee_overflow 0
		.amdhsa_exception_fp_ieee_underflow 0
		.amdhsa_exception_fp_ieee_inexact 0
		.amdhsa_exception_int_div_zero 0
	.end_amdhsa_kernel
	.section	.text._Z6kernelI27subtract_right_partial_tileLj256ELj3ELb1EJPdPiS1_jEEvDpT3_,"axG",@progbits,_Z6kernelI27subtract_right_partial_tileLj256ELj3ELb1EJPdPiS1_jEEvDpT3_,comdat
.Lfunc_end235:
	.size	_Z6kernelI27subtract_right_partial_tileLj256ELj3ELb1EJPdPiS1_jEEvDpT3_, .Lfunc_end235-_Z6kernelI27subtract_right_partial_tileLj256ELj3ELb1EJPdPiS1_jEEvDpT3_
                                        ; -- End function
	.set _Z6kernelI27subtract_right_partial_tileLj256ELj3ELb1EJPdPiS1_jEEvDpT3_.num_vgpr, 17
	.set _Z6kernelI27subtract_right_partial_tileLj256ELj3ELb1EJPdPiS1_jEEvDpT3_.num_agpr, 0
	.set _Z6kernelI27subtract_right_partial_tileLj256ELj3ELb1EJPdPiS1_jEEvDpT3_.numbered_sgpr, 12
	.set _Z6kernelI27subtract_right_partial_tileLj256ELj3ELb1EJPdPiS1_jEEvDpT3_.num_named_barrier, 0
	.set _Z6kernelI27subtract_right_partial_tileLj256ELj3ELb1EJPdPiS1_jEEvDpT3_.private_seg_size, 0
	.set _Z6kernelI27subtract_right_partial_tileLj256ELj3ELb1EJPdPiS1_jEEvDpT3_.uses_vcc, 1
	.set _Z6kernelI27subtract_right_partial_tileLj256ELj3ELb1EJPdPiS1_jEEvDpT3_.uses_flat_scratch, 0
	.set _Z6kernelI27subtract_right_partial_tileLj256ELj3ELb1EJPdPiS1_jEEvDpT3_.has_dyn_sized_stack, 0
	.set _Z6kernelI27subtract_right_partial_tileLj256ELj3ELb1EJPdPiS1_jEEvDpT3_.has_recursion, 0
	.set _Z6kernelI27subtract_right_partial_tileLj256ELj3ELb1EJPdPiS1_jEEvDpT3_.has_indirect_call, 0
	.section	.AMDGPU.csdata,"",@progbits
; Kernel info:
; codeLenInByte = 556
; TotalNumSgprs: 14
; NumVgprs: 17
; ScratchSize: 0
; MemoryBound: 0
; FloatMode: 240
; IeeeMode: 1
; LDSByteSize: 4096 bytes/workgroup (compile time only)
; SGPRBlocks: 0
; VGPRBlocks: 2
; NumSGPRsForWavesPerEU: 14
; NumVGPRsForWavesPerEU: 17
; Occupancy: 16
; WaveLimiterHint : 1
; COMPUTE_PGM_RSRC2:SCRATCH_EN: 0
; COMPUTE_PGM_RSRC2:USER_SGPR: 2
; COMPUTE_PGM_RSRC2:TRAP_HANDLER: 0
; COMPUTE_PGM_RSRC2:TGID_X_EN: 1
; COMPUTE_PGM_RSRC2:TGID_Y_EN: 0
; COMPUTE_PGM_RSRC2:TGID_Z_EN: 0
; COMPUTE_PGM_RSRC2:TIDIG_COMP_CNT: 0
	.section	.text._Z6kernelI27subtract_right_partial_tileLj256ELj4ELb1EJPdPiS1_jEEvDpT3_,"axG",@progbits,_Z6kernelI27subtract_right_partial_tileLj256ELj4ELb1EJPdPiS1_jEEvDpT3_,comdat
	.protected	_Z6kernelI27subtract_right_partial_tileLj256ELj4ELb1EJPdPiS1_jEEvDpT3_ ; -- Begin function _Z6kernelI27subtract_right_partial_tileLj256ELj4ELb1EJPdPiS1_jEEvDpT3_
	.globl	_Z6kernelI27subtract_right_partial_tileLj256ELj4ELb1EJPdPiS1_jEEvDpT3_
	.p2align	8
	.type	_Z6kernelI27subtract_right_partial_tileLj256ELj4ELb1EJPdPiS1_jEEvDpT3_,@function
_Z6kernelI27subtract_right_partial_tileLj256ELj4ELb1EJPdPiS1_jEEvDpT3_: ; @_Z6kernelI27subtract_right_partial_tileLj256ELj4ELb1EJPdPiS1_jEEvDpT3_
; %bb.0:
	s_load_b128 s[8:11], s[0:1], 0x0
	s_lshl_b32 s6, ttmp9, 10
	s_mov_b32 s7, 0
	v_lshlrev_b32_e32 v11, 3, v0
	s_lshl_b64 s[4:5], s[6:7], 3
	s_load_b96 s[0:2], s[0:1], 0x10
	s_wait_kmcnt 0x0
	s_add_nc_u64 s[8:9], s[8:9], s[4:5]
	s_clause 0x3
	global_load_b64 v[1:2], v11, s[8:9]
	global_load_b64 v[3:4], v11, s[8:9] offset:2048
	global_load_b64 v[5:6], v11, s[8:9] offset:4096
	;; [unrolled: 1-line block ×3, first 2 shown]
	s_cvt_f32_u32 s3, s2
	s_sub_co_i32 s6, 0, s2
	s_delay_alu instid0(SALU_CYCLE_2) | instskip(NEXT) | instid1(TRANS32_DEP_1)
	v_rcp_iflag_f32_e32 v9, s3
	v_readfirstlane_b32 s3, v9
	v_lshlrev_b32_e32 v9, 2, v0
	s_mul_f32 s3, s3, 0x4f7ffffe
	s_delay_alu instid0(VALU_DEP_1)
	v_or_b32_e32 v12, 1, v9
	v_or_b32_e32 v13, 2, v9
	;; [unrolled: 1-line block ×3, first 2 shown]
	s_wait_alu 0xfffe
	s_cvt_u32_f32 s3, s3
	v_add_nc_u32_e32 v15, 4, v9
	s_wait_alu 0xfffe
	s_delay_alu instid0(SALU_CYCLE_1) | instskip(NEXT) | instid1(SALU_CYCLE_1)
	s_mul_i32 s6, s6, s3
	s_mul_hi_u32 s8, s3, s6
	s_mov_b32 s6, ttmp9
	s_add_co_i32 s3, s3, s8
	s_lshl_b64 s[6:7], s[6:7], 2
	s_wait_alu 0xfffe
	s_lshr_b32 s8, s3, 22
	s_add_nc_u64 s[6:7], s[10:11], s[6:7]
	s_load_b32 s3, s[6:7], 0x0
	s_mul_i32 s7, s8, s2
	s_mov_b32 s6, s0
	s_sub_co_i32 s0, 0x400, s7
	s_add_co_i32 s7, s8, 1
	s_sub_co_i32 s9, s0, s2
	s_cmp_ge_u32 s0, s2
	s_cselect_b32 s7, s7, s8
	s_cselect_b32 s0, s9, s0
	s_add_co_i32 s8, s7, 1
	s_cmp_ge_u32 s0, s2
	s_cselect_b32 s8, s8, s7
	s_mov_b32 s7, s1
	s_add_co_i32 s8, s8, 1
	s_branch .LBB236_2
.LBB236_1:                              ;   in Loop: Header=BB236_2 Depth=1
	s_or_b32 exec_lo, exec_lo, s0
	v_add_f64_e64 v[16:17], v[1:2], -v[3:4]
	v_add_f64_e64 v[18:19], v[3:4], -v[5:6]
	;; [unrolled: 1-line block ×3, first 2 shown]
	v_cmp_gt_u32_e32 vcc_lo, s3, v12
	v_cmp_gt_u32_e64 s0, s3, v13
	v_cmp_gt_u32_e64 s1, s3, v14
	v_add_f64_e32 v[7:8], v[7:8], v[9:10]
	s_add_co_i32 s2, s2, -1
	s_wait_loadcnt 0x0
	s_barrier_signal -1
	s_barrier_wait -1
	global_inv scope:SCOPE_SE
	s_wait_alu 0xfffd
	v_dual_cndmask_b32 v17, v2, v17 :: v_dual_cndmask_b32 v16, v1, v16
	v_cndmask_b32_e64 v19, v4, v19, s0
	v_cndmask_b32_e64 v18, v3, v18, s0
	;; [unrolled: 1-line block ×4, first 2 shown]
	v_add_f64_e32 v[1:2], v[1:2], v[16:17]
	s_add_co_i32 s0, s8, s3
	v_add_f64_e32 v[3:4], v[3:4], v[18:19]
	s_wait_alu 0xfffe
	s_and_b32 s3, s0, 0x3ff
	v_add_f64_e32 v[5:6], v[5:6], v[20:21]
	s_cmp_lg_u32 s2, 0
	s_cbranch_scc0 .LBB236_4
.LBB236_2:                              ; =>This Inner Loop Header: Depth=1
	s_wait_loadcnt 0x0
	v_dual_mov_b32 v10, v8 :: v_dual_mov_b32 v9, v7
	s_mov_b32 s0, exec_lo
	ds_store_b64 v11, v[1:2] offset:2048
	s_wait_dscnt 0x0
	s_barrier_signal -1
	s_barrier_wait -1
	global_inv scope:SCOPE_SE
	s_wait_kmcnt 0x0
	s_wait_alu 0xfffe
	v_cmpx_gt_u32_e64 s3, v15
	s_cbranch_execz .LBB236_1
; %bb.3:                                ;   in Loop: Header=BB236_2 Depth=1
	ds_load_b64 v[9:10], v11 offset:2056
	s_wait_dscnt 0x0
	v_add_f64_e64 v[9:10], v[7:8], -v[9:10]
	s_branch .LBB236_1
.LBB236_4:
	v_lshlrev_b32_e32 v0, 3, v0
	s_add_nc_u64 s[0:1], s[6:7], s[4:5]
	s_clause 0x3
	global_store_b64 v0, v[1:2], s[0:1]
	global_store_b64 v0, v[3:4], s[0:1] offset:2048
	global_store_b64 v0, v[5:6], s[0:1] offset:4096
	;; [unrolled: 1-line block ×3, first 2 shown]
	s_endpgm
	.section	.rodata,"a",@progbits
	.p2align	6, 0x0
	.amdhsa_kernel _Z6kernelI27subtract_right_partial_tileLj256ELj4ELb1EJPdPiS1_jEEvDpT3_
		.amdhsa_group_segment_fixed_size 4096
		.amdhsa_private_segment_fixed_size 0
		.amdhsa_kernarg_size 28
		.amdhsa_user_sgpr_count 2
		.amdhsa_user_sgpr_dispatch_ptr 0
		.amdhsa_user_sgpr_queue_ptr 0
		.amdhsa_user_sgpr_kernarg_segment_ptr 1
		.amdhsa_user_sgpr_dispatch_id 0
		.amdhsa_user_sgpr_private_segment_size 0
		.amdhsa_wavefront_size32 1
		.amdhsa_uses_dynamic_stack 0
		.amdhsa_enable_private_segment 0
		.amdhsa_system_sgpr_workgroup_id_x 1
		.amdhsa_system_sgpr_workgroup_id_y 0
		.amdhsa_system_sgpr_workgroup_id_z 0
		.amdhsa_system_sgpr_workgroup_info 0
		.amdhsa_system_vgpr_workitem_id 0
		.amdhsa_next_free_vgpr 22
		.amdhsa_next_free_sgpr 12
		.amdhsa_reserve_vcc 1
		.amdhsa_float_round_mode_32 0
		.amdhsa_float_round_mode_16_64 0
		.amdhsa_float_denorm_mode_32 3
		.amdhsa_float_denorm_mode_16_64 3
		.amdhsa_fp16_overflow 0
		.amdhsa_workgroup_processor_mode 1
		.amdhsa_memory_ordered 1
		.amdhsa_forward_progress 1
		.amdhsa_inst_pref_size 5
		.amdhsa_round_robin_scheduling 0
		.amdhsa_exception_fp_ieee_invalid_op 0
		.amdhsa_exception_fp_denorm_src 0
		.amdhsa_exception_fp_ieee_div_zero 0
		.amdhsa_exception_fp_ieee_overflow 0
		.amdhsa_exception_fp_ieee_underflow 0
		.amdhsa_exception_fp_ieee_inexact 0
		.amdhsa_exception_int_div_zero 0
	.end_amdhsa_kernel
	.section	.text._Z6kernelI27subtract_right_partial_tileLj256ELj4ELb1EJPdPiS1_jEEvDpT3_,"axG",@progbits,_Z6kernelI27subtract_right_partial_tileLj256ELj4ELb1EJPdPiS1_jEEvDpT3_,comdat
.Lfunc_end236:
	.size	_Z6kernelI27subtract_right_partial_tileLj256ELj4ELb1EJPdPiS1_jEEvDpT3_, .Lfunc_end236-_Z6kernelI27subtract_right_partial_tileLj256ELj4ELb1EJPdPiS1_jEEvDpT3_
                                        ; -- End function
	.set _Z6kernelI27subtract_right_partial_tileLj256ELj4ELb1EJPdPiS1_jEEvDpT3_.num_vgpr, 22
	.set _Z6kernelI27subtract_right_partial_tileLj256ELj4ELb1EJPdPiS1_jEEvDpT3_.num_agpr, 0
	.set _Z6kernelI27subtract_right_partial_tileLj256ELj4ELb1EJPdPiS1_jEEvDpT3_.numbered_sgpr, 12
	.set _Z6kernelI27subtract_right_partial_tileLj256ELj4ELb1EJPdPiS1_jEEvDpT3_.num_named_barrier, 0
	.set _Z6kernelI27subtract_right_partial_tileLj256ELj4ELb1EJPdPiS1_jEEvDpT3_.private_seg_size, 0
	.set _Z6kernelI27subtract_right_partial_tileLj256ELj4ELb1EJPdPiS1_jEEvDpT3_.uses_vcc, 1
	.set _Z6kernelI27subtract_right_partial_tileLj256ELj4ELb1EJPdPiS1_jEEvDpT3_.uses_flat_scratch, 0
	.set _Z6kernelI27subtract_right_partial_tileLj256ELj4ELb1EJPdPiS1_jEEvDpT3_.has_dyn_sized_stack, 0
	.set _Z6kernelI27subtract_right_partial_tileLj256ELj4ELb1EJPdPiS1_jEEvDpT3_.has_recursion, 0
	.set _Z6kernelI27subtract_right_partial_tileLj256ELj4ELb1EJPdPiS1_jEEvDpT3_.has_indirect_call, 0
	.section	.AMDGPU.csdata,"",@progbits
; Kernel info:
; codeLenInByte = 576
; TotalNumSgprs: 14
; NumVgprs: 22
; ScratchSize: 0
; MemoryBound: 0
; FloatMode: 240
; IeeeMode: 1
; LDSByteSize: 4096 bytes/workgroup (compile time only)
; SGPRBlocks: 0
; VGPRBlocks: 2
; NumSGPRsForWavesPerEU: 14
; NumVGPRsForWavesPerEU: 22
; Occupancy: 16
; WaveLimiterHint : 1
; COMPUTE_PGM_RSRC2:SCRATCH_EN: 0
; COMPUTE_PGM_RSRC2:USER_SGPR: 2
; COMPUTE_PGM_RSRC2:TRAP_HANDLER: 0
; COMPUTE_PGM_RSRC2:TGID_X_EN: 1
; COMPUTE_PGM_RSRC2:TGID_Y_EN: 0
; COMPUTE_PGM_RSRC2:TGID_Z_EN: 0
; COMPUTE_PGM_RSRC2:TIDIG_COMP_CNT: 0
	.section	.text._Z6kernelI27subtract_right_partial_tileLj256ELj8ELb1EJPdPiS1_jEEvDpT3_,"axG",@progbits,_Z6kernelI27subtract_right_partial_tileLj256ELj8ELb1EJPdPiS1_jEEvDpT3_,comdat
	.protected	_Z6kernelI27subtract_right_partial_tileLj256ELj8ELb1EJPdPiS1_jEEvDpT3_ ; -- Begin function _Z6kernelI27subtract_right_partial_tileLj256ELj8ELb1EJPdPiS1_jEEvDpT3_
	.globl	_Z6kernelI27subtract_right_partial_tileLj256ELj8ELb1EJPdPiS1_jEEvDpT3_
	.p2align	8
	.type	_Z6kernelI27subtract_right_partial_tileLj256ELj8ELb1EJPdPiS1_jEEvDpT3_,@function
_Z6kernelI27subtract_right_partial_tileLj256ELj8ELb1EJPdPiS1_jEEvDpT3_: ; @_Z6kernelI27subtract_right_partial_tileLj256ELj8ELb1EJPdPiS1_jEEvDpT3_
; %bb.0:
	s_clause 0x1
	s_load_b128 s[12:15], s[0:1], 0x0
	s_load_b96 s[4:6], s[0:1], 0x10
	s_lshl_b32 s2, ttmp9, 11
	s_mov_b32 s3, 0
	v_lshlrev_b32_e32 v19, 3, v0
	s_lshl_b64 s[8:9], s[2:3], 3
	s_mov_b32 s2, ttmp9
	s_delay_alu instid0(VALU_DEP_1)
	v_or_b32_e32 v20, 1, v19
	v_or_b32_e32 v21, 2, v19
	;; [unrolled: 1-line block ×7, first 2 shown]
	v_add_nc_u32_e32 v27, 8, v19
	s_wait_kmcnt 0x0
	s_add_nc_u64 s[0:1], s[12:13], s[8:9]
	s_mov_b32 s10, s4
	s_clause 0x7
	global_load_b64 v[15:16], v19, s[0:1]
	global_load_b64 v[13:14], v19, s[0:1] offset:2048
	global_load_b64 v[11:12], v19, s[0:1] offset:4096
	;; [unrolled: 1-line block ×7, first 2 shown]
	s_cvt_f32_u32 s0, s6
	s_sub_co_i32 s1, 0, s6
	s_mov_b32 s11, s5
	s_delay_alu instid0(SALU_CYCLE_1) | instskip(NEXT) | instid1(TRANS32_DEP_1)
	v_rcp_iflag_f32_e32 v17, s0
	v_readfirstlane_b32 s0, v17
	s_mul_f32 s0, s0, 0x4f7ffffe
	s_wait_alu 0xfffe
	s_delay_alu instid0(SALU_CYCLE_2) | instskip(SKIP_1) | instid1(SALU_CYCLE_2)
	s_cvt_u32_f32 s0, s0
	s_wait_alu 0xfffe
	s_mul_i32 s1, s1, s0
	s_wait_alu 0xfffe
	s_mul_hi_u32 s1, s0, s1
	s_wait_alu 0xfffe
	s_add_co_i32 s7, s0, s1
	s_lshl_b64 s[0:1], s[2:3], 2
	s_lshr_b32 s2, s7, 21
	s_wait_alu 0xfffe
	s_add_nc_u64 s[0:1], s[14:15], s[0:1]
	s_mul_i32 s3, s2, s6
	s_load_b32 s7, s[0:1], 0x0
	s_sub_co_i32 s0, 0x800, s3
	s_add_co_i32 s1, s2, 1
	s_wait_alu 0xfffe
	s_sub_co_i32 s3, s0, s6
	s_cmp_ge_u32 s0, s6
	s_cselect_b32 s1, s1, s2
	s_cselect_b32 s0, s3, s0
	s_wait_alu 0xfffe
	s_add_co_i32 s2, s1, 1
	s_cmp_ge_u32 s0, s6
	s_cselect_b32 s12, s2, s1
	s_delay_alu instid0(SALU_CYCLE_1)
	s_add_co_i32 s12, s12, 1
	s_branch .LBB237_2
.LBB237_1:                              ;   in Loop: Header=BB237_2 Depth=1
	s_or_b32 exec_lo, exec_lo, s0
	v_add_f64_e64 v[28:29], v[15:16], -v[13:14]
	v_add_f64_e64 v[30:31], v[13:14], -v[11:12]
	;; [unrolled: 1-line block ×7, first 2 shown]
	v_cmp_gt_u32_e32 vcc_lo, s7, v20
	v_cmp_gt_u32_e64 s0, s7, v21
	v_cmp_gt_u32_e64 s1, s7, v22
	;; [unrolled: 1-line block ×6, first 2 shown]
	v_add_f64_e32 v[1:2], v[1:2], v[17:18]
	s_add_co_i32 s6, s6, -1
	s_wait_loadcnt 0x0
	s_barrier_signal -1
	s_barrier_wait -1
	global_inv scope:SCOPE_SE
	s_wait_alu 0xfffd
	v_dual_cndmask_b32 v29, v16, v29 :: v_dual_cndmask_b32 v28, v15, v28
	v_cndmask_b32_e64 v31, v14, v31, s0
	v_cndmask_b32_e64 v30, v13, v30, s0
	;; [unrolled: 1-line block ×12, first 2 shown]
	v_add_f64_e32 v[15:16], v[15:16], v[28:29]
	v_add_f64_e32 v[13:14], v[13:14], v[30:31]
	;; [unrolled: 1-line block ×7, first 2 shown]
	s_add_co_i32 s0, s12, s7
	s_wait_alu 0xfffe
	s_and_b32 s7, s0, 0x7ff
	s_cmp_lg_u32 s6, 0
	s_cbranch_scc0 .LBB237_4
.LBB237_2:                              ; =>This Inner Loop Header: Depth=1
	s_wait_loadcnt 0x0
	v_dual_mov_b32 v18, v2 :: v_dual_mov_b32 v17, v1
	s_mov_b32 s0, exec_lo
	ds_store_b64 v19, v[15:16] offset:2048
	s_wait_dscnt 0x0
	s_barrier_signal -1
	s_barrier_wait -1
	global_inv scope:SCOPE_SE
	s_wait_kmcnt 0x0
	s_wait_alu 0xfffe
	v_cmpx_gt_u32_e64 s7, v27
	s_cbranch_execz .LBB237_1
; %bb.3:                                ;   in Loop: Header=BB237_2 Depth=1
	ds_load_b64 v[17:18], v19 offset:2056
	s_wait_dscnt 0x0
	v_add_f64_e64 v[17:18], v[1:2], -v[17:18]
	s_branch .LBB237_1
.LBB237_4:
	v_lshlrev_b32_e32 v0, 3, v0
	s_add_nc_u64 s[0:1], s[10:11], s[8:9]
	s_clause 0x7
	global_store_b64 v0, v[15:16], s[0:1]
	global_store_b64 v0, v[13:14], s[0:1] offset:2048
	global_store_b64 v0, v[11:12], s[0:1] offset:4096
	;; [unrolled: 1-line block ×7, first 2 shown]
	s_endpgm
	.section	.rodata,"a",@progbits
	.p2align	6, 0x0
	.amdhsa_kernel _Z6kernelI27subtract_right_partial_tileLj256ELj8ELb1EJPdPiS1_jEEvDpT3_
		.amdhsa_group_segment_fixed_size 4096
		.amdhsa_private_segment_fixed_size 0
		.amdhsa_kernarg_size 28
		.amdhsa_user_sgpr_count 2
		.amdhsa_user_sgpr_dispatch_ptr 0
		.amdhsa_user_sgpr_queue_ptr 0
		.amdhsa_user_sgpr_kernarg_segment_ptr 1
		.amdhsa_user_sgpr_dispatch_id 0
		.amdhsa_user_sgpr_private_segment_size 0
		.amdhsa_wavefront_size32 1
		.amdhsa_uses_dynamic_stack 0
		.amdhsa_enable_private_segment 0
		.amdhsa_system_sgpr_workgroup_id_x 1
		.amdhsa_system_sgpr_workgroup_id_y 0
		.amdhsa_system_sgpr_workgroup_id_z 0
		.amdhsa_system_sgpr_workgroup_info 0
		.amdhsa_system_vgpr_workitem_id 0
		.amdhsa_next_free_vgpr 42
		.amdhsa_next_free_sgpr 16
		.amdhsa_reserve_vcc 1
		.amdhsa_float_round_mode_32 0
		.amdhsa_float_round_mode_16_64 0
		.amdhsa_float_denorm_mode_32 3
		.amdhsa_float_denorm_mode_16_64 3
		.amdhsa_fp16_overflow 0
		.amdhsa_workgroup_processor_mode 1
		.amdhsa_memory_ordered 1
		.amdhsa_forward_progress 1
		.amdhsa_inst_pref_size 7
		.amdhsa_round_robin_scheduling 0
		.amdhsa_exception_fp_ieee_invalid_op 0
		.amdhsa_exception_fp_denorm_src 0
		.amdhsa_exception_fp_ieee_div_zero 0
		.amdhsa_exception_fp_ieee_overflow 0
		.amdhsa_exception_fp_ieee_underflow 0
		.amdhsa_exception_fp_ieee_inexact 0
		.amdhsa_exception_int_div_zero 0
	.end_amdhsa_kernel
	.section	.text._Z6kernelI27subtract_right_partial_tileLj256ELj8ELb1EJPdPiS1_jEEvDpT3_,"axG",@progbits,_Z6kernelI27subtract_right_partial_tileLj256ELj8ELb1EJPdPiS1_jEEvDpT3_,comdat
.Lfunc_end237:
	.size	_Z6kernelI27subtract_right_partial_tileLj256ELj8ELb1EJPdPiS1_jEEvDpT3_, .Lfunc_end237-_Z6kernelI27subtract_right_partial_tileLj256ELj8ELb1EJPdPiS1_jEEvDpT3_
                                        ; -- End function
	.set _Z6kernelI27subtract_right_partial_tileLj256ELj8ELb1EJPdPiS1_jEEvDpT3_.num_vgpr, 42
	.set _Z6kernelI27subtract_right_partial_tileLj256ELj8ELb1EJPdPiS1_jEEvDpT3_.num_agpr, 0
	.set _Z6kernelI27subtract_right_partial_tileLj256ELj8ELb1EJPdPiS1_jEEvDpT3_.numbered_sgpr, 16
	.set _Z6kernelI27subtract_right_partial_tileLj256ELj8ELb1EJPdPiS1_jEEvDpT3_.num_named_barrier, 0
	.set _Z6kernelI27subtract_right_partial_tileLj256ELj8ELb1EJPdPiS1_jEEvDpT3_.private_seg_size, 0
	.set _Z6kernelI27subtract_right_partial_tileLj256ELj8ELb1EJPdPiS1_jEEvDpT3_.uses_vcc, 1
	.set _Z6kernelI27subtract_right_partial_tileLj256ELj8ELb1EJPdPiS1_jEEvDpT3_.uses_flat_scratch, 0
	.set _Z6kernelI27subtract_right_partial_tileLj256ELj8ELb1EJPdPiS1_jEEvDpT3_.has_dyn_sized_stack, 0
	.set _Z6kernelI27subtract_right_partial_tileLj256ELj8ELb1EJPdPiS1_jEEvDpT3_.has_recursion, 0
	.set _Z6kernelI27subtract_right_partial_tileLj256ELj8ELb1EJPdPiS1_jEEvDpT3_.has_indirect_call, 0
	.section	.AMDGPU.csdata,"",@progbits
; Kernel info:
; codeLenInByte = 852
; TotalNumSgprs: 18
; NumVgprs: 42
; ScratchSize: 0
; MemoryBound: 0
; FloatMode: 240
; IeeeMode: 1
; LDSByteSize: 4096 bytes/workgroup (compile time only)
; SGPRBlocks: 0
; VGPRBlocks: 5
; NumSGPRsForWavesPerEU: 18
; NumVGPRsForWavesPerEU: 42
; Occupancy: 16
; WaveLimiterHint : 1
; COMPUTE_PGM_RSRC2:SCRATCH_EN: 0
; COMPUTE_PGM_RSRC2:USER_SGPR: 2
; COMPUTE_PGM_RSRC2:TRAP_HANDLER: 0
; COMPUTE_PGM_RSRC2:TGID_X_EN: 1
; COMPUTE_PGM_RSRC2:TGID_Y_EN: 0
; COMPUTE_PGM_RSRC2:TGID_Z_EN: 0
; COMPUTE_PGM_RSRC2:TIDIG_COMP_CNT: 0
	.section	.text._Z6kernelI27subtract_right_partial_tileLj256ELj16ELb1EJPdPiS1_jEEvDpT3_,"axG",@progbits,_Z6kernelI27subtract_right_partial_tileLj256ELj16ELb1EJPdPiS1_jEEvDpT3_,comdat
	.protected	_Z6kernelI27subtract_right_partial_tileLj256ELj16ELb1EJPdPiS1_jEEvDpT3_ ; -- Begin function _Z6kernelI27subtract_right_partial_tileLj256ELj16ELb1EJPdPiS1_jEEvDpT3_
	.globl	_Z6kernelI27subtract_right_partial_tileLj256ELj16ELb1EJPdPiS1_jEEvDpT3_
	.p2align	8
	.type	_Z6kernelI27subtract_right_partial_tileLj256ELj16ELb1EJPdPiS1_jEEvDpT3_,@function
_Z6kernelI27subtract_right_partial_tileLj256ELj16ELb1EJPdPiS1_jEEvDpT3_: ; @_Z6kernelI27subtract_right_partial_tileLj256ELj16ELb1EJPdPiS1_jEEvDpT3_
; %bb.0:
	s_clause 0x1
	s_load_b128 s[4:7], s[0:1], 0x0
	s_load_b96 s[8:10], s[0:1], 0x10
	s_lshl_b32 s2, ttmp9, 12
	s_mov_b32 s3, 0
	v_lshlrev_b32_e32 v35, 3, v0
	s_lshl_b64 s[12:13], s[2:3], 3
	s_mov_b32 s2, ttmp9
	s_wait_kmcnt 0x0
	s_add_nc_u64 s[0:1], s[4:5], s[12:13]
	s_clause 0xf
	global_load_b64 v[31:32], v35, s[0:1]
	global_load_b64 v[29:30], v35, s[0:1] offset:2048
	global_load_b64 v[27:28], v35, s[0:1] offset:4096
	;; [unrolled: 1-line block ×15, first 2 shown]
	s_cvt_f32_u32 s0, s10
	s_sub_co_i32 s1, 0, s10
	s_delay_alu instid0(SALU_CYCLE_2) | instskip(NEXT) | instid1(TRANS32_DEP_1)
	v_rcp_iflag_f32_e32 v33, s0
	v_readfirstlane_b32 s0, v33
	v_lshlrev_b32_e32 v33, 4, v0
	s_mul_f32 s0, s0, 0x4f7ffffe
	s_delay_alu instid0(VALU_DEP_1)
	v_or_b32_e32 v36, 1, v33
	v_or_b32_e32 v37, 2, v33
	v_or_b32_e32 v38, 3, v33
	s_wait_alu 0xfffe
	s_cvt_u32_f32 s0, s0
	v_or_b32_e32 v39, 4, v33
	v_or_b32_e32 v40, 5, v33
	;; [unrolled: 1-line block ×3, first 2 shown]
	s_wait_alu 0xfffe
	s_mul_i32 s1, s1, s0
	v_or_b32_e32 v42, 7, v33
	s_wait_alu 0xfffe
	s_mul_hi_u32 s1, s0, s1
	v_or_b32_e32 v43, 8, v33
	s_wait_alu 0xfffe
	s_add_co_i32 s4, s0, s1
	s_lshl_b64 s[0:1], s[2:3], 2
	s_lshr_b32 s2, s4, 20
	s_wait_alu 0xfffe
	s_add_nc_u64 s[0:1], s[6:7], s[0:1]
	s_mul_i32 s3, s2, s10
	s_load_b32 s11, s[0:1], 0x0
	s_sub_co_i32 s0, 0x1000, s3
	s_add_co_i32 s1, s2, 1
	s_wait_alu 0xfffe
	s_sub_co_i32 s3, s0, s10
	s_cmp_ge_u32 s0, s10
	v_or_b32_e32 v44, 9, v33
	s_cselect_b32 s1, s1, s2
	s_cselect_b32 s0, s3, s0
	s_wait_alu 0xfffe
	s_add_co_i32 s2, s1, 1
	s_cmp_ge_u32 s0, s10
	v_or_b32_e32 v45, 10, v33
	v_or_b32_e32 v46, 11, v33
	;; [unrolled: 1-line block ×6, first 2 shown]
	v_add_nc_u32_e32 v51, 16, v33
	s_cselect_b32 s14, s2, s1
	s_delay_alu instid0(SALU_CYCLE_1)
	s_add_co_i32 s14, s14, 1
	s_branch .LBB238_2
.LBB238_1:                              ;   in Loop: Header=BB238_2 Depth=1
	s_or_b32 exec_lo, exec_lo, s0
	v_add_f64_e64 v[52:53], v[31:32], -v[29:30]
	v_add_f64_e64 v[54:55], v[29:30], -v[27:28]
	;; [unrolled: 1-line block ×15, first 2 shown]
	v_cmp_gt_u32_e32 vcc_lo, s11, v36
	v_cmp_gt_u32_e64 s0, s11, v37
	v_cmp_gt_u32_e64 s1, s11, v38
	;; [unrolled: 1-line block ×8, first 2 shown]
	v_add_f64_e32 v[1:2], v[1:2], v[33:34]
	s_add_co_i32 s10, s10, -1
	s_wait_loadcnt 0x0
	s_barrier_signal -1
	s_barrier_wait -1
	global_inv scope:SCOPE_SE
	s_wait_alu 0xfffd
	v_dual_cndmask_b32 v53, v32, v53 :: v_dual_cndmask_b32 v52, v31, v52
	v_cmp_gt_u32_e32 vcc_lo, s11, v45
	v_cndmask_b32_e64 v55, v30, v55, s0
	v_cndmask_b32_e64 v54, v29, v54, s0
	v_cmp_gt_u32_e64 s0, s11, v46
	v_cndmask_b32_e64 v57, v28, v57, s1
	s_wait_alu 0xfffd
	v_dual_cndmask_b32 v71, v14, v71 :: v_dual_cndmask_b32 v70, v13, v70
	v_cmp_gt_u32_e32 vcc_lo, s11, v47
	v_cndmask_b32_e64 v56, v27, v56, s1
	s_wait_alu 0xf1ff
	v_cndmask_b32_e64 v73, v12, v73, s0
	v_cndmask_b32_e64 v72, v11, v72, s0
	v_cmp_gt_u32_e64 s0, s11, v48
	s_wait_alu 0xfffd
	v_dual_cndmask_b32 v75, v10, v75 :: v_dual_cndmask_b32 v74, v9, v74
	v_cmp_gt_u32_e32 vcc_lo, s11, v49
	v_cmp_gt_u32_e64 s1, s11, v50
	v_cndmask_b32_e64 v59, v26, v59, s2
	v_cndmask_b32_e64 v58, v25, v58, s2
	v_cndmask_b32_e64 v61, v24, v61, s3
	v_cndmask_b32_e64 v60, v23, v60, s3
	v_cndmask_b32_e64 v63, v22, v63, s4
	v_cndmask_b32_e64 v62, v21, v62, s4
	v_cndmask_b32_e64 v65, v20, v65, s5
	v_cndmask_b32_e64 v64, v19, v64, s5
	v_cndmask_b32_e64 v67, v18, v67, s6
	v_cndmask_b32_e64 v66, v17, v66, s6
	v_cndmask_b32_e64 v69, v16, v69, s7
	v_cndmask_b32_e64 v68, v15, v68, s7
	s_wait_alu 0xf1ff
	v_cndmask_b32_e64 v77, v8, v77, s0
	v_cndmask_b32_e64 v76, v7, v76, s0
	s_wait_alu 0xfffd
	v_dual_cndmask_b32 v79, v6, v79 :: v_dual_cndmask_b32 v78, v5, v78
	v_cndmask_b32_e64 v81, v4, v81, s1
	v_cndmask_b32_e64 v80, v3, v80, s1
	v_add_f64_e32 v[31:32], v[31:32], v[52:53]
	v_add_f64_e32 v[29:30], v[29:30], v[54:55]
	;; [unrolled: 1-line block ×15, first 2 shown]
	s_add_co_i32 s0, s14, s11
	s_wait_alu 0xfffe
	s_and_b32 s11, s0, 0xfff
	s_cmp_lg_u32 s10, 0
	s_cbranch_scc0 .LBB238_4
.LBB238_2:                              ; =>This Inner Loop Header: Depth=1
	s_wait_loadcnt 0x0
	v_dual_mov_b32 v34, v2 :: v_dual_mov_b32 v33, v1
	s_mov_b32 s0, exec_lo
	ds_store_b64 v35, v[31:32] offset:2048
	s_wait_dscnt 0x0
	s_barrier_signal -1
	s_barrier_wait -1
	global_inv scope:SCOPE_SE
	s_wait_kmcnt 0x0
	s_wait_alu 0xfffe
	v_cmpx_gt_u32_e64 s11, v51
	s_cbranch_execz .LBB238_1
; %bb.3:                                ;   in Loop: Header=BB238_2 Depth=1
	ds_load_b64 v[33:34], v35 offset:2056
	s_wait_dscnt 0x0
	v_add_f64_e64 v[33:34], v[1:2], -v[33:34]
	s_branch .LBB238_1
.LBB238_4:
	v_lshlrev_b32_e32 v0, 3, v0
	s_add_nc_u64 s[0:1], s[8:9], s[12:13]
	s_clause 0xf
	global_store_b64 v0, v[31:32], s[0:1]
	global_store_b64 v0, v[29:30], s[0:1] offset:2048
	global_store_b64 v0, v[27:28], s[0:1] offset:4096
	;; [unrolled: 1-line block ×15, first 2 shown]
	s_endpgm
	.section	.rodata,"a",@progbits
	.p2align	6, 0x0
	.amdhsa_kernel _Z6kernelI27subtract_right_partial_tileLj256ELj16ELb1EJPdPiS1_jEEvDpT3_
		.amdhsa_group_segment_fixed_size 4096
		.amdhsa_private_segment_fixed_size 0
		.amdhsa_kernarg_size 28
		.amdhsa_user_sgpr_count 2
		.amdhsa_user_sgpr_dispatch_ptr 0
		.amdhsa_user_sgpr_queue_ptr 0
		.amdhsa_user_sgpr_kernarg_segment_ptr 1
		.amdhsa_user_sgpr_dispatch_id 0
		.amdhsa_user_sgpr_private_segment_size 0
		.amdhsa_wavefront_size32 1
		.amdhsa_uses_dynamic_stack 0
		.amdhsa_enable_private_segment 0
		.amdhsa_system_sgpr_workgroup_id_x 1
		.amdhsa_system_sgpr_workgroup_id_y 0
		.amdhsa_system_sgpr_workgroup_id_z 0
		.amdhsa_system_sgpr_workgroup_info 0
		.amdhsa_system_vgpr_workitem_id 0
		.amdhsa_next_free_vgpr 82
		.amdhsa_next_free_sgpr 15
		.amdhsa_reserve_vcc 1
		.amdhsa_float_round_mode_32 0
		.amdhsa_float_round_mode_16_64 0
		.amdhsa_float_denorm_mode_32 3
		.amdhsa_float_denorm_mode_16_64 3
		.amdhsa_fp16_overflow 0
		.amdhsa_workgroup_processor_mode 1
		.amdhsa_memory_ordered 1
		.amdhsa_forward_progress 1
		.amdhsa_inst_pref_size 11
		.amdhsa_round_robin_scheduling 0
		.amdhsa_exception_fp_ieee_invalid_op 0
		.amdhsa_exception_fp_denorm_src 0
		.amdhsa_exception_fp_ieee_div_zero 0
		.amdhsa_exception_fp_ieee_overflow 0
		.amdhsa_exception_fp_ieee_underflow 0
		.amdhsa_exception_fp_ieee_inexact 0
		.amdhsa_exception_int_div_zero 0
	.end_amdhsa_kernel
	.section	.text._Z6kernelI27subtract_right_partial_tileLj256ELj16ELb1EJPdPiS1_jEEvDpT3_,"axG",@progbits,_Z6kernelI27subtract_right_partial_tileLj256ELj16ELb1EJPdPiS1_jEEvDpT3_,comdat
.Lfunc_end238:
	.size	_Z6kernelI27subtract_right_partial_tileLj256ELj16ELb1EJPdPiS1_jEEvDpT3_, .Lfunc_end238-_Z6kernelI27subtract_right_partial_tileLj256ELj16ELb1EJPdPiS1_jEEvDpT3_
                                        ; -- End function
	.set _Z6kernelI27subtract_right_partial_tileLj256ELj16ELb1EJPdPiS1_jEEvDpT3_.num_vgpr, 82
	.set _Z6kernelI27subtract_right_partial_tileLj256ELj16ELb1EJPdPiS1_jEEvDpT3_.num_agpr, 0
	.set _Z6kernelI27subtract_right_partial_tileLj256ELj16ELb1EJPdPiS1_jEEvDpT3_.numbered_sgpr, 15
	.set _Z6kernelI27subtract_right_partial_tileLj256ELj16ELb1EJPdPiS1_jEEvDpT3_.num_named_barrier, 0
	.set _Z6kernelI27subtract_right_partial_tileLj256ELj16ELb1EJPdPiS1_jEEvDpT3_.private_seg_size, 0
	.set _Z6kernelI27subtract_right_partial_tileLj256ELj16ELb1EJPdPiS1_jEEvDpT3_.uses_vcc, 1
	.set _Z6kernelI27subtract_right_partial_tileLj256ELj16ELb1EJPdPiS1_jEEvDpT3_.uses_flat_scratch, 0
	.set _Z6kernelI27subtract_right_partial_tileLj256ELj16ELb1EJPdPiS1_jEEvDpT3_.has_dyn_sized_stack, 0
	.set _Z6kernelI27subtract_right_partial_tileLj256ELj16ELb1EJPdPiS1_jEEvDpT3_.has_recursion, 0
	.set _Z6kernelI27subtract_right_partial_tileLj256ELj16ELb1EJPdPiS1_jEEvDpT3_.has_indirect_call, 0
	.section	.AMDGPU.csdata,"",@progbits
; Kernel info:
; codeLenInByte = 1340
; TotalNumSgprs: 17
; NumVgprs: 82
; ScratchSize: 0
; MemoryBound: 0
; FloatMode: 240
; IeeeMode: 1
; LDSByteSize: 4096 bytes/workgroup (compile time only)
; SGPRBlocks: 0
; VGPRBlocks: 10
; NumSGPRsForWavesPerEU: 17
; NumVGPRsForWavesPerEU: 82
; Occupancy: 16
; WaveLimiterHint : 1
; COMPUTE_PGM_RSRC2:SCRATCH_EN: 0
; COMPUTE_PGM_RSRC2:USER_SGPR: 2
; COMPUTE_PGM_RSRC2:TRAP_HANDLER: 0
; COMPUTE_PGM_RSRC2:TGID_X_EN: 1
; COMPUTE_PGM_RSRC2:TGID_Y_EN: 0
; COMPUTE_PGM_RSRC2:TGID_Z_EN: 0
; COMPUTE_PGM_RSRC2:TIDIG_COMP_CNT: 0
	.section	.text._Z6kernelI27subtract_right_partial_tileLj256ELj32ELb1EJPdPiS1_jEEvDpT3_,"axG",@progbits,_Z6kernelI27subtract_right_partial_tileLj256ELj32ELb1EJPdPiS1_jEEvDpT3_,comdat
	.protected	_Z6kernelI27subtract_right_partial_tileLj256ELj32ELb1EJPdPiS1_jEEvDpT3_ ; -- Begin function _Z6kernelI27subtract_right_partial_tileLj256ELj32ELb1EJPdPiS1_jEEvDpT3_
	.globl	_Z6kernelI27subtract_right_partial_tileLj256ELj32ELb1EJPdPiS1_jEEvDpT3_
	.p2align	8
	.type	_Z6kernelI27subtract_right_partial_tileLj256ELj32ELb1EJPdPiS1_jEEvDpT3_,@function
_Z6kernelI27subtract_right_partial_tileLj256ELj32ELb1EJPdPiS1_jEEvDpT3_: ; @_Z6kernelI27subtract_right_partial_tileLj256ELj32ELb1EJPdPiS1_jEEvDpT3_
; %bb.0:
	s_clause 0x1
	s_load_b128 s[4:7], s[0:1], 0x0
	s_load_b96 s[8:10], s[0:1], 0x10
	s_lshl_b32 s2, ttmp9, 13
	s_mov_b32 s3, 0
	v_lshlrev_b32_e32 v67, 3, v0
	s_lshl_b64 s[12:13], s[2:3], 3
	s_mov_b32 s2, ttmp9
	s_wait_kmcnt 0x0
	s_add_nc_u64 s[4:5], s[4:5], s[12:13]
	s_cvt_f32_u32 s0, s10
	s_clause 0x1f
	global_load_b64 v[7:8], v67, s[4:5]
	global_load_b64 v[5:6], v67, s[4:5] offset:2048
	global_load_b64 v[3:4], v67, s[4:5] offset:4096
	;; [unrolled: 1-line block ×31, first 2 shown]
	v_rcp_iflag_f32_e32 v65, s0
	s_delay_alu instid0(TRANS32_DEP_1)
	v_readfirstlane_b32 s0, v65
	v_lshlrev_b32_e32 v65, 5, v0
	s_mul_f32 s4, s0, 0x4f7ffffe
	s_lshl_b64 s[0:1], s[2:3], 2
	s_sub_co_i32 s3, 0, s10
	s_wait_alu 0xfffe
	s_add_nc_u64 s[0:1], s[6:7], s[0:1]
	s_cvt_u32_f32 s2, s4
	s_load_b32 s11, s[0:1], 0x0
	v_or_b32_e32 v68, 1, v65
	v_or_b32_e32 v69, 2, v65
	s_mul_i32 s3, s3, s2
	v_or_b32_e32 v70, 3, v65
	s_mul_hi_u32 s3, s2, s3
	v_or_b32_e32 v71, 4, v65
	s_add_co_i32 s2, s2, s3
	v_or_b32_e32 v72, 5, v65
	s_lshr_b32 s2, s2, 19
	v_or_b32_e32 v73, 6, v65
	s_mul_i32 s3, s2, s10
	s_add_co_i32 s4, s2, 1
	s_sub_co_i32 s3, 0x2000, s3
	v_or_b32_e32 v74, 7, v65
	s_sub_co_i32 s5, s3, s10
	s_cmp_ge_u32 s3, s10
	v_or_b32_e32 v75, 8, v65
	s_cselect_b32 s2, s4, s2
	s_cselect_b32 s3, s5, s3
	s_add_co_i32 s4, s2, 1
	s_cmp_ge_u32 s3, s10
	v_or_b32_e32 v76, 9, v65
	v_or_b32_e32 v77, 10, v65
	;; [unrolled: 1-line block ×23, first 2 shown]
	v_add_nc_u32_e32 v99, 32, v65
	s_cselect_b32 s14, s4, s2
	s_delay_alu instid0(SALU_CYCLE_1)
	s_add_co_i32 s14, s14, 1
	s_branch .LBB239_2
.LBB239_1:                              ;   in Loop: Header=BB239_2 Depth=1
	s_or_b32 exec_lo, exec_lo, s0
	v_add_f64_e64 v[100:101], v[7:8], -v[5:6]
	v_add_f64_e64 v[102:103], v[5:6], -v[3:4]
	;; [unrolled: 1-line block ×13, first 2 shown]
	v_cmp_gt_u32_e32 vcc_lo, s11, v68
	v_add_f64_e64 v[104:105], v[3:4], -v[1:2]
	v_add_f64_e64 v[144:145], v[43:44], -v[41:42]
	;; [unrolled: 1-line block ×3, first 2 shown]
	v_cmp_gt_u32_e64 s0, s11, v69
	v_add_f64_e64 v[122:123], v[17:18], -v[31:32]
	v_add_f64_e64 v[148:149], v[55:56], -v[53:54]
	;; [unrolled: 1-line block ×15, first 2 shown]
	v_cmp_gt_u32_e64 s1, s11, v70
	v_cmp_gt_u32_e64 s2, s11, v71
	;; [unrolled: 1-line block ×5, first 2 shown]
	s_wait_alu 0xfffd
	v_dual_cndmask_b32 v101, v8, v101 :: v_dual_cndmask_b32 v100, v7, v100
	v_cmp_gt_u32_e32 vcc_lo, s11, v77
	s_wait_alu 0xf1ff
	v_cndmask_b32_e64 v103, v6, v103, s0
	v_cndmask_b32_e64 v102, v5, v102, s0
	v_cmp_gt_u32_e64 s0, s11, v78
	v_cmp_gt_u32_e64 s6, s11, v75
	s_wait_alu 0xfffd
	v_dual_cndmask_b32 v119, v22, v119 :: v_dual_cndmask_b32 v118, v21, v118
	v_cmp_gt_u32_e32 vcc_lo, s11, v80
	s_wait_alu 0xf1ff
	v_cndmask_b32_e64 v121, v20, v121, s0
	v_cndmask_b32_e64 v120, v19, v120, s0
	v_cmp_gt_u32_e64 s0, s11, v81
	v_cmp_gt_u32_e64 s7, s11, v76
	s_wait_alu 0xfffd
	v_dual_cndmask_b32 v125, v32, v125 :: v_dual_cndmask_b32 v124, v31, v124
	v_cmp_gt_u32_e32 vcc_lo, s11, v82
	s_wait_alu 0xf1ff
	v_cndmask_b32_e64 v127, v30, v127, s0
	v_cndmask_b32_e64 v126, v29, v126, s0
	v_cmp_gt_u32_e64 s0, s11, v84
	v_cndmask_b32_e64 v105, v4, v105, s1
	s_wait_alu 0xfffd
	v_dual_cndmask_b32 v129, v28, v129 :: v_dual_cndmask_b32 v128, v27, v128
	v_cmp_gt_u32_e32 vcc_lo, s11, v85
	s_wait_alu 0xf1ff
	v_cndmask_b32_e64 v133, v40, v133, s0
	v_cndmask_b32_e64 v132, v39, v132, s0
	v_cmp_gt_u32_e64 s0, s11, v86
	v_cndmask_b32_e64 v104, v3, v104, s1
	s_wait_alu 0xfffd
	v_dual_cndmask_b32 v135, v38, v135 :: v_dual_cndmask_b32 v134, v37, v134
	v_cmp_gt_u32_e32 vcc_lo, s11, v87
	s_wait_alu 0xf1ff
	v_cndmask_b32_e64 v137, v36, v137, s0
	v_cndmask_b32_e64 v136, v35, v136, s0
	v_cmp_gt_u32_e64 s0, s11, v88
	v_cmp_gt_u32_e64 s1, s11, v79
	s_wait_alu 0xfffd
	v_dual_cndmask_b32 v139, v34, v139 :: v_dual_cndmask_b32 v138, v33, v138
	v_cmp_gt_u32_e32 vcc_lo, s11, v89
	s_wait_alu 0xf1ff
	v_cndmask_b32_e64 v141, v48, v141, s0
	v_cndmask_b32_e64 v140, v47, v140, s0
	v_cmp_gt_u32_e64 s0, s11, v90
	v_cndmask_b32_e64 v123, v18, v123, s1
	s_wait_alu 0xfffd
	v_dual_cndmask_b32 v143, v46, v143 :: v_dual_cndmask_b32 v142, v45, v142
	v_cmp_gt_u32_e32 vcc_lo, s11, v91
	s_wait_alu 0xf1ff
	v_cndmask_b32_e64 v145, v44, v145, s0
	v_cndmask_b32_e64 v144, v43, v144, s0
	v_cmp_gt_u32_e64 s0, s11, v92
	v_cndmask_b32_e64 v122, v17, v122, s1
	s_wait_alu 0xfffd
	v_dual_cndmask_b32 v147, v42, v147 :: v_dual_cndmask_b32 v146, v41, v146
	v_cmp_gt_u32_e32 vcc_lo, s11, v93
	v_cmp_gt_u32_e64 s1, s11, v83
	s_wait_alu 0xf1ff
	v_cndmask_b32_e64 v149, v56, v149, s0
	v_cndmask_b32_e64 v148, v55, v148, s0
	v_cmp_gt_u32_e64 s0, s11, v94
	s_wait_alu 0xfffd
	v_dual_cndmask_b32 v151, v54, v151 :: v_dual_cndmask_b32 v150, v53, v150
	v_cmp_gt_u32_e32 vcc_lo, s11, v95
	v_cndmask_b32_e64 v131, v26, v131, s1
	v_cndmask_b32_e64 v130, v25, v130, s1
	s_wait_alu 0xf1ff
	v_cndmask_b32_e64 v153, v52, v153, s0
	v_cndmask_b32_e64 v152, v51, v152, s0
	s_wait_alu 0xfffd
	v_dual_cndmask_b32 v155, v50, v155 :: v_dual_cndmask_b32 v154, v49, v154
	v_cmp_gt_u32_e64 s0, s11, v96
	v_cmp_gt_u32_e32 vcc_lo, s11, v97
	v_cmp_gt_u32_e64 s1, s11, v98
	v_cndmask_b32_e64 v107, v2, v107, s2
	v_cndmask_b32_e64 v106, v1, v106, s2
	;; [unrolled: 1-line block ×12, first 2 shown]
	s_wait_alu 0xf1ff
	v_cndmask_b32_e64 v157, v64, v157, s0
	v_cndmask_b32_e64 v156, v63, v156, s0
	s_wait_alu 0xfffd
	v_dual_cndmask_b32 v159, v62, v159 :: v_dual_cndmask_b32 v158, v61, v158
	v_cndmask_b32_e64 v161, v60, v161, s1
	v_cndmask_b32_e64 v160, v59, v160, s1
	v_add_f64_e32 v[7:8], v[7:8], v[100:101]
	v_add_f64_e32 v[5:6], v[5:6], v[102:103]
	;; [unrolled: 1-line block ×32, first 2 shown]
	s_add_co_i32 s0, s14, s11
	s_add_co_i32 s10, s10, -1
	s_wait_alu 0xfffe
	s_and_b32 s11, s0, 0x1fff
	s_cmp_lg_u32 s10, 0
	s_wait_loadcnt 0x0
	s_barrier_signal -1
	s_barrier_wait -1
	global_inv scope:SCOPE_SE
	s_cbranch_scc0 .LBB239_4
.LBB239_2:                              ; =>This Inner Loop Header: Depth=1
	s_wait_loadcnt 0x0
	v_dual_mov_b32 v66, v58 :: v_dual_mov_b32 v65, v57
	s_mov_b32 s0, exec_lo
	ds_store_b64 v67, v[7:8] offset:2048
	s_wait_dscnt 0x0
	s_barrier_signal -1
	s_barrier_wait -1
	global_inv scope:SCOPE_SE
	s_wait_kmcnt 0x0
	s_wait_alu 0xfffe
	v_cmpx_gt_u32_e64 s11, v99
	s_cbranch_execz .LBB239_1
; %bb.3:                                ;   in Loop: Header=BB239_2 Depth=1
	ds_load_b64 v[65:66], v67 offset:2056
	s_wait_dscnt 0x0
	v_add_f64_e64 v[65:66], v[57:58], -v[65:66]
	s_branch .LBB239_1
.LBB239_4:
	v_lshlrev_b32_e32 v0, 3, v0
	s_add_nc_u64 s[0:1], s[8:9], s[12:13]
	s_clause 0x1f
	global_store_b64 v0, v[7:8], s[0:1]
	global_store_b64 v0, v[5:6], s[0:1] offset:2048
	global_store_b64 v0, v[3:4], s[0:1] offset:4096
	;; [unrolled: 1-line block ×31, first 2 shown]
	s_nop 0
	s_sendmsg sendmsg(MSG_DEALLOC_VGPRS)
	s_endpgm
	.section	.rodata,"a",@progbits
	.p2align	6, 0x0
	.amdhsa_kernel _Z6kernelI27subtract_right_partial_tileLj256ELj32ELb1EJPdPiS1_jEEvDpT3_
		.amdhsa_group_segment_fixed_size 4096
		.amdhsa_private_segment_fixed_size 0
		.amdhsa_kernarg_size 28
		.amdhsa_user_sgpr_count 2
		.amdhsa_user_sgpr_dispatch_ptr 0
		.amdhsa_user_sgpr_queue_ptr 0
		.amdhsa_user_sgpr_kernarg_segment_ptr 1
		.amdhsa_user_sgpr_dispatch_id 0
		.amdhsa_user_sgpr_private_segment_size 0
		.amdhsa_wavefront_size32 1
		.amdhsa_uses_dynamic_stack 0
		.amdhsa_enable_private_segment 0
		.amdhsa_system_sgpr_workgroup_id_x 1
		.amdhsa_system_sgpr_workgroup_id_y 0
		.amdhsa_system_sgpr_workgroup_id_z 0
		.amdhsa_system_sgpr_workgroup_info 0
		.amdhsa_system_vgpr_workitem_id 0
		.amdhsa_next_free_vgpr 162
		.amdhsa_next_free_sgpr 15
		.amdhsa_reserve_vcc 1
		.amdhsa_float_round_mode_32 0
		.amdhsa_float_round_mode_16_64 0
		.amdhsa_float_denorm_mode_32 3
		.amdhsa_float_denorm_mode_16_64 3
		.amdhsa_fp16_overflow 0
		.amdhsa_workgroup_processor_mode 1
		.amdhsa_memory_ordered 1
		.amdhsa_forward_progress 1
		.amdhsa_inst_pref_size 19
		.amdhsa_round_robin_scheduling 0
		.amdhsa_exception_fp_ieee_invalid_op 0
		.amdhsa_exception_fp_denorm_src 0
		.amdhsa_exception_fp_ieee_div_zero 0
		.amdhsa_exception_fp_ieee_overflow 0
		.amdhsa_exception_fp_ieee_underflow 0
		.amdhsa_exception_fp_ieee_inexact 0
		.amdhsa_exception_int_div_zero 0
	.end_amdhsa_kernel
	.section	.text._Z6kernelI27subtract_right_partial_tileLj256ELj32ELb1EJPdPiS1_jEEvDpT3_,"axG",@progbits,_Z6kernelI27subtract_right_partial_tileLj256ELj32ELb1EJPdPiS1_jEEvDpT3_,comdat
.Lfunc_end239:
	.size	_Z6kernelI27subtract_right_partial_tileLj256ELj32ELb1EJPdPiS1_jEEvDpT3_, .Lfunc_end239-_Z6kernelI27subtract_right_partial_tileLj256ELj32ELb1EJPdPiS1_jEEvDpT3_
                                        ; -- End function
	.set _Z6kernelI27subtract_right_partial_tileLj256ELj32ELb1EJPdPiS1_jEEvDpT3_.num_vgpr, 162
	.set _Z6kernelI27subtract_right_partial_tileLj256ELj32ELb1EJPdPiS1_jEEvDpT3_.num_agpr, 0
	.set _Z6kernelI27subtract_right_partial_tileLj256ELj32ELb1EJPdPiS1_jEEvDpT3_.numbered_sgpr, 15
	.set _Z6kernelI27subtract_right_partial_tileLj256ELj32ELb1EJPdPiS1_jEEvDpT3_.num_named_barrier, 0
	.set _Z6kernelI27subtract_right_partial_tileLj256ELj32ELb1EJPdPiS1_jEEvDpT3_.private_seg_size, 0
	.set _Z6kernelI27subtract_right_partial_tileLj256ELj32ELb1EJPdPiS1_jEEvDpT3_.uses_vcc, 1
	.set _Z6kernelI27subtract_right_partial_tileLj256ELj32ELb1EJPdPiS1_jEEvDpT3_.uses_flat_scratch, 0
	.set _Z6kernelI27subtract_right_partial_tileLj256ELj32ELb1EJPdPiS1_jEEvDpT3_.has_dyn_sized_stack, 0
	.set _Z6kernelI27subtract_right_partial_tileLj256ELj32ELb1EJPdPiS1_jEEvDpT3_.has_recursion, 0
	.set _Z6kernelI27subtract_right_partial_tileLj256ELj32ELb1EJPdPiS1_jEEvDpT3_.has_indirect_call, 0
	.section	.AMDGPU.csdata,"",@progbits
; Kernel info:
; codeLenInByte = 2320
; TotalNumSgprs: 17
; NumVgprs: 162
; ScratchSize: 0
; MemoryBound: 0
; FloatMode: 240
; IeeeMode: 1
; LDSByteSize: 4096 bytes/workgroup (compile time only)
; SGPRBlocks: 0
; VGPRBlocks: 20
; NumSGPRsForWavesPerEU: 17
; NumVGPRsForWavesPerEU: 162
; Occupancy: 9
; WaveLimiterHint : 1
; COMPUTE_PGM_RSRC2:SCRATCH_EN: 0
; COMPUTE_PGM_RSRC2:USER_SGPR: 2
; COMPUTE_PGM_RSRC2:TRAP_HANDLER: 0
; COMPUTE_PGM_RSRC2:TGID_X_EN: 1
; COMPUTE_PGM_RSRC2:TGID_Y_EN: 0
; COMPUTE_PGM_RSRC2:TGID_Z_EN: 0
; COMPUTE_PGM_RSRC2:TIDIG_COMP_CNT: 0
	.section	.AMDGPU.gpr_maximums,"",@progbits
	.set amdgpu.max_num_vgpr, 0
	.set amdgpu.max_num_agpr, 0
	.set amdgpu.max_num_sgpr, 0
	.section	.AMDGPU.csdata,"",@progbits
	.type	__hip_cuid_fd435d8a99d14fca,@object ; @__hip_cuid_fd435d8a99d14fca
	.section	.bss,"aw",@nobits
	.globl	__hip_cuid_fd435d8a99d14fca
__hip_cuid_fd435d8a99d14fca:
	.byte	0                               ; 0x0
	.size	__hip_cuid_fd435d8a99d14fca, 1

	.ident	"AMD clang version 22.0.0git (https://github.com/RadeonOpenCompute/llvm-project roc-7.2.4 26084 f58b06dce1f9c15707c5f808fd002e18c2accf7e)"
	.section	".note.GNU-stack","",@progbits
	.addrsig
	.addrsig_sym __hip_cuid_fd435d8a99d14fca
	.amdgpu_metadata
---
amdhsa.kernels:
  - .args:
      - .address_space:  global
        .offset:         0
        .size:           8
        .value_kind:     global_buffer
      - .address_space:  global
        .offset:         8
        .size:           8
        .value_kind:     global_buffer
      - .offset:         16
        .size:           4
        .value_kind:     by_value
    .group_segment_fixed_size: 2048
    .kernarg_segment_align: 8
    .kernarg_segment_size: 20
    .language:       OpenCL C
    .language_version:
      - 2
      - 0
    .max_flat_workgroup_size: 256
    .name:           _Z6kernelI13subtract_leftLj256ELj1ELb0EJPiS1_jEEvDpT3_
    .private_segment_fixed_size: 0
    .sgpr_count:     10
    .sgpr_spill_count: 0
    .symbol:         _Z6kernelI13subtract_leftLj256ELj1ELb0EJPiS1_jEEvDpT3_.kd
    .uniform_work_group_size: 1
    .uses_dynamic_stack: false
    .vgpr_count:     4
    .vgpr_spill_count: 0
    .wavefront_size: 32
    .workgroup_processor_mode: 1
  - .args:
      - .address_space:  global
        .offset:         0
        .size:           8
        .value_kind:     global_buffer
      - .address_space:  global
        .offset:         8
        .size:           8
        .value_kind:     global_buffer
      - .offset:         16
        .size:           4
        .value_kind:     by_value
    .group_segment_fixed_size: 2048
    .kernarg_segment_align: 8
    .kernarg_segment_size: 20
    .language:       OpenCL C
    .language_version:
      - 2
      - 0
    .max_flat_workgroup_size: 256
    .name:           _Z6kernelI13subtract_leftLj256ELj3ELb0EJPiS1_jEEvDpT3_
    .private_segment_fixed_size: 0
    .sgpr_count:     10
    .sgpr_spill_count: 0
    .symbol:         _Z6kernelI13subtract_leftLj256ELj3ELb0EJPiS1_jEEvDpT3_.kd
    .uniform_work_group_size: 1
    .uses_dynamic_stack: false
    .vgpr_count:     8
    .vgpr_spill_count: 0
    .wavefront_size: 32
    .workgroup_processor_mode: 1
  - .args:
      - .address_space:  global
        .offset:         0
        .size:           8
        .value_kind:     global_buffer
      - .address_space:  global
        .offset:         8
        .size:           8
        .value_kind:     global_buffer
      - .offset:         16
        .size:           4
        .value_kind:     by_value
    .group_segment_fixed_size: 2048
    .kernarg_segment_align: 8
    .kernarg_segment_size: 20
    .language:       OpenCL C
    .language_version:
      - 2
      - 0
    .max_flat_workgroup_size: 256
    .name:           _Z6kernelI13subtract_leftLj256ELj4ELb0EJPiS1_jEEvDpT3_
    .private_segment_fixed_size: 0
    .sgpr_count:     10
    .sgpr_spill_count: 0
    .symbol:         _Z6kernelI13subtract_leftLj256ELj4ELb0EJPiS1_jEEvDpT3_.kd
    .uniform_work_group_size: 1
    .uses_dynamic_stack: false
    .vgpr_count:     10
    .vgpr_spill_count: 0
    .wavefront_size: 32
    .workgroup_processor_mode: 1
  - .args:
      - .address_space:  global
        .offset:         0
        .size:           8
        .value_kind:     global_buffer
      - .address_space:  global
        .offset:         8
        .size:           8
        .value_kind:     global_buffer
      - .offset:         16
        .size:           4
        .value_kind:     by_value
    .group_segment_fixed_size: 2048
    .kernarg_segment_align: 8
    .kernarg_segment_size: 20
    .language:       OpenCL C
    .language_version:
      - 2
      - 0
    .max_flat_workgroup_size: 256
    .name:           _Z6kernelI13subtract_leftLj256ELj8ELb0EJPiS1_jEEvDpT3_
    .private_segment_fixed_size: 0
    .sgpr_count:     10
    .sgpr_spill_count: 0
    .symbol:         _Z6kernelI13subtract_leftLj256ELj8ELb0EJPiS1_jEEvDpT3_.kd
    .uniform_work_group_size: 1
    .uses_dynamic_stack: false
    .vgpr_count:     18
    .vgpr_spill_count: 0
    .wavefront_size: 32
    .workgroup_processor_mode: 1
  - .args:
      - .address_space:  global
        .offset:         0
        .size:           8
        .value_kind:     global_buffer
      - .address_space:  global
        .offset:         8
        .size:           8
        .value_kind:     global_buffer
      - .offset:         16
        .size:           4
        .value_kind:     by_value
    .group_segment_fixed_size: 2048
    .kernarg_segment_align: 8
    .kernarg_segment_size: 20
    .language:       OpenCL C
    .language_version:
      - 2
      - 0
    .max_flat_workgroup_size: 256
    .name:           _Z6kernelI13subtract_leftLj256ELj16ELb0EJPiS1_jEEvDpT3_
    .private_segment_fixed_size: 0
    .sgpr_count:     10
    .sgpr_spill_count: 0
    .symbol:         _Z6kernelI13subtract_leftLj256ELj16ELb0EJPiS1_jEEvDpT3_.kd
    .uniform_work_group_size: 1
    .uses_dynamic_stack: false
    .vgpr_count:     34
    .vgpr_spill_count: 0
    .wavefront_size: 32
    .workgroup_processor_mode: 1
  - .args:
      - .address_space:  global
        .offset:         0
        .size:           8
        .value_kind:     global_buffer
      - .address_space:  global
        .offset:         8
        .size:           8
        .value_kind:     global_buffer
      - .offset:         16
        .size:           4
        .value_kind:     by_value
    .group_segment_fixed_size: 2048
    .kernarg_segment_align: 8
    .kernarg_segment_size: 20
    .language:       OpenCL C
    .language_version:
      - 2
      - 0
    .max_flat_workgroup_size: 256
    .name:           _Z6kernelI13subtract_leftLj256ELj32ELb0EJPiS1_jEEvDpT3_
    .private_segment_fixed_size: 0
    .sgpr_count:     10
    .sgpr_spill_count: 0
    .symbol:         _Z6kernelI13subtract_leftLj256ELj32ELb0EJPiS1_jEEvDpT3_.kd
    .uniform_work_group_size: 1
    .uses_dynamic_stack: false
    .vgpr_count:     66
    .vgpr_spill_count: 0
    .wavefront_size: 32
    .workgroup_processor_mode: 1
  - .args:
      - .address_space:  global
        .offset:         0
        .size:           8
        .value_kind:     global_buffer
      - .address_space:  global
        .offset:         8
        .size:           8
        .value_kind:     global_buffer
      - .offset:         16
        .size:           4
        .value_kind:     by_value
    .group_segment_fixed_size: 2048
    .kernarg_segment_align: 8
    .kernarg_segment_size: 20
    .language:       OpenCL C
    .language_version:
      - 2
      - 0
    .max_flat_workgroup_size: 256
    .name:           _Z6kernelI13subtract_leftLj256ELj1ELb0EJPfS1_jEEvDpT3_
    .private_segment_fixed_size: 0
    .sgpr_count:     10
    .sgpr_spill_count: 0
    .symbol:         _Z6kernelI13subtract_leftLj256ELj1ELb0EJPfS1_jEEvDpT3_.kd
    .uniform_work_group_size: 1
    .uses_dynamic_stack: false
    .vgpr_count:     4
    .vgpr_spill_count: 0
    .wavefront_size: 32
    .workgroup_processor_mode: 1
  - .args:
      - .address_space:  global
        .offset:         0
        .size:           8
        .value_kind:     global_buffer
      - .address_space:  global
        .offset:         8
        .size:           8
        .value_kind:     global_buffer
      - .offset:         16
        .size:           4
        .value_kind:     by_value
    .group_segment_fixed_size: 2048
    .kernarg_segment_align: 8
    .kernarg_segment_size: 20
    .language:       OpenCL C
    .language_version:
      - 2
      - 0
    .max_flat_workgroup_size: 256
    .name:           _Z6kernelI13subtract_leftLj256ELj3ELb0EJPfS1_jEEvDpT3_
    .private_segment_fixed_size: 0
    .sgpr_count:     10
    .sgpr_spill_count: 0
    .symbol:         _Z6kernelI13subtract_leftLj256ELj3ELb0EJPfS1_jEEvDpT3_.kd
    .uniform_work_group_size: 1
    .uses_dynamic_stack: false
    .vgpr_count:     8
    .vgpr_spill_count: 0
    .wavefront_size: 32
    .workgroup_processor_mode: 1
  - .args:
      - .address_space:  global
        .offset:         0
        .size:           8
        .value_kind:     global_buffer
      - .address_space:  global
        .offset:         8
        .size:           8
        .value_kind:     global_buffer
      - .offset:         16
        .size:           4
        .value_kind:     by_value
    .group_segment_fixed_size: 2048
    .kernarg_segment_align: 8
    .kernarg_segment_size: 20
    .language:       OpenCL C
    .language_version:
      - 2
      - 0
    .max_flat_workgroup_size: 256
    .name:           _Z6kernelI13subtract_leftLj256ELj4ELb0EJPfS1_jEEvDpT3_
    .private_segment_fixed_size: 0
    .sgpr_count:     10
    .sgpr_spill_count: 0
    .symbol:         _Z6kernelI13subtract_leftLj256ELj4ELb0EJPfS1_jEEvDpT3_.kd
    .uniform_work_group_size: 1
    .uses_dynamic_stack: false
    .vgpr_count:     10
    .vgpr_spill_count: 0
    .wavefront_size: 32
    .workgroup_processor_mode: 1
  - .args:
      - .address_space:  global
        .offset:         0
        .size:           8
        .value_kind:     global_buffer
      - .address_space:  global
        .offset:         8
        .size:           8
        .value_kind:     global_buffer
      - .offset:         16
        .size:           4
        .value_kind:     by_value
    .group_segment_fixed_size: 2048
    .kernarg_segment_align: 8
    .kernarg_segment_size: 20
    .language:       OpenCL C
    .language_version:
      - 2
      - 0
    .max_flat_workgroup_size: 256
    .name:           _Z6kernelI13subtract_leftLj256ELj8ELb0EJPfS1_jEEvDpT3_
    .private_segment_fixed_size: 0
    .sgpr_count:     10
    .sgpr_spill_count: 0
    .symbol:         _Z6kernelI13subtract_leftLj256ELj8ELb0EJPfS1_jEEvDpT3_.kd
    .uniform_work_group_size: 1
    .uses_dynamic_stack: false
    .vgpr_count:     18
    .vgpr_spill_count: 0
    .wavefront_size: 32
    .workgroup_processor_mode: 1
  - .args:
      - .address_space:  global
        .offset:         0
        .size:           8
        .value_kind:     global_buffer
      - .address_space:  global
        .offset:         8
        .size:           8
        .value_kind:     global_buffer
      - .offset:         16
        .size:           4
        .value_kind:     by_value
    .group_segment_fixed_size: 2048
    .kernarg_segment_align: 8
    .kernarg_segment_size: 20
    .language:       OpenCL C
    .language_version:
      - 2
      - 0
    .max_flat_workgroup_size: 256
    .name:           _Z6kernelI13subtract_leftLj256ELj16ELb0EJPfS1_jEEvDpT3_
    .private_segment_fixed_size: 0
    .sgpr_count:     10
    .sgpr_spill_count: 0
    .symbol:         _Z6kernelI13subtract_leftLj256ELj16ELb0EJPfS1_jEEvDpT3_.kd
    .uniform_work_group_size: 1
    .uses_dynamic_stack: false
    .vgpr_count:     34
    .vgpr_spill_count: 0
    .wavefront_size: 32
    .workgroup_processor_mode: 1
  - .args:
      - .address_space:  global
        .offset:         0
        .size:           8
        .value_kind:     global_buffer
      - .address_space:  global
        .offset:         8
        .size:           8
        .value_kind:     global_buffer
      - .offset:         16
        .size:           4
        .value_kind:     by_value
    .group_segment_fixed_size: 2048
    .kernarg_segment_align: 8
    .kernarg_segment_size: 20
    .language:       OpenCL C
    .language_version:
      - 2
      - 0
    .max_flat_workgroup_size: 256
    .name:           _Z6kernelI13subtract_leftLj256ELj32ELb0EJPfS1_jEEvDpT3_
    .private_segment_fixed_size: 0
    .sgpr_count:     10
    .sgpr_spill_count: 0
    .symbol:         _Z6kernelI13subtract_leftLj256ELj32ELb0EJPfS1_jEEvDpT3_.kd
    .uniform_work_group_size: 1
    .uses_dynamic_stack: false
    .vgpr_count:     66
    .vgpr_spill_count: 0
    .wavefront_size: 32
    .workgroup_processor_mode: 1
  - .args:
      - .address_space:  global
        .offset:         0
        .size:           8
        .value_kind:     global_buffer
      - .address_space:  global
        .offset:         8
        .size:           8
        .value_kind:     global_buffer
      - .offset:         16
        .size:           4
        .value_kind:     by_value
    .group_segment_fixed_size: 512
    .kernarg_segment_align: 8
    .kernarg_segment_size: 20
    .language:       OpenCL C
    .language_version:
      - 2
      - 0
    .max_flat_workgroup_size: 256
    .name:           _Z6kernelI13subtract_leftLj256ELj1ELb0EJPaS1_jEEvDpT3_
    .private_segment_fixed_size: 0
    .sgpr_count:     10
    .sgpr_spill_count: 0
    .symbol:         _Z6kernelI13subtract_leftLj256ELj1ELb0EJPaS1_jEEvDpT3_.kd
    .uniform_work_group_size: 1
    .uses_dynamic_stack: false
    .vgpr_count:     4
    .vgpr_spill_count: 0
    .wavefront_size: 32
    .workgroup_processor_mode: 1
  - .args:
      - .address_space:  global
        .offset:         0
        .size:           8
        .value_kind:     global_buffer
      - .address_space:  global
        .offset:         8
        .size:           8
        .value_kind:     global_buffer
      - .offset:         16
        .size:           4
        .value_kind:     by_value
    .group_segment_fixed_size: 512
    .kernarg_segment_align: 8
    .kernarg_segment_size: 20
    .language:       OpenCL C
    .language_version:
      - 2
      - 0
    .max_flat_workgroup_size: 256
    .name:           _Z6kernelI13subtract_leftLj256ELj3ELb0EJPaS1_jEEvDpT3_
    .private_segment_fixed_size: 0
    .sgpr_count:     10
    .sgpr_spill_count: 0
    .symbol:         _Z6kernelI13subtract_leftLj256ELj3ELb0EJPaS1_jEEvDpT3_.kd
    .uniform_work_group_size: 1
    .uses_dynamic_stack: false
    .vgpr_count:     9
    .vgpr_spill_count: 0
    .wavefront_size: 32
    .workgroup_processor_mode: 1
  - .args:
      - .address_space:  global
        .offset:         0
        .size:           8
        .value_kind:     global_buffer
      - .address_space:  global
        .offset:         8
        .size:           8
        .value_kind:     global_buffer
      - .offset:         16
        .size:           4
        .value_kind:     by_value
    .group_segment_fixed_size: 512
    .kernarg_segment_align: 8
    .kernarg_segment_size: 20
    .language:       OpenCL C
    .language_version:
      - 2
      - 0
    .max_flat_workgroup_size: 256
    .name:           _Z6kernelI13subtract_leftLj256ELj4ELb0EJPaS1_jEEvDpT3_
    .private_segment_fixed_size: 0
    .sgpr_count:     10
    .sgpr_spill_count: 0
    .symbol:         _Z6kernelI13subtract_leftLj256ELj4ELb0EJPaS1_jEEvDpT3_.kd
    .uniform_work_group_size: 1
    .uses_dynamic_stack: false
    .vgpr_count:     11
    .vgpr_spill_count: 0
    .wavefront_size: 32
    .workgroup_processor_mode: 1
  - .args:
      - .address_space:  global
        .offset:         0
        .size:           8
        .value_kind:     global_buffer
      - .address_space:  global
        .offset:         8
        .size:           8
        .value_kind:     global_buffer
      - .offset:         16
        .size:           4
        .value_kind:     by_value
    .group_segment_fixed_size: 512
    .kernarg_segment_align: 8
    .kernarg_segment_size: 20
    .language:       OpenCL C
    .language_version:
      - 2
      - 0
    .max_flat_workgroup_size: 256
    .name:           _Z6kernelI13subtract_leftLj256ELj8ELb0EJPaS1_jEEvDpT3_
    .private_segment_fixed_size: 0
    .sgpr_count:     10
    .sgpr_spill_count: 0
    .symbol:         _Z6kernelI13subtract_leftLj256ELj8ELb0EJPaS1_jEEvDpT3_.kd
    .uniform_work_group_size: 1
    .uses_dynamic_stack: false
    .vgpr_count:     19
    .vgpr_spill_count: 0
    .wavefront_size: 32
    .workgroup_processor_mode: 1
  - .args:
      - .address_space:  global
        .offset:         0
        .size:           8
        .value_kind:     global_buffer
      - .address_space:  global
        .offset:         8
        .size:           8
        .value_kind:     global_buffer
      - .offset:         16
        .size:           4
        .value_kind:     by_value
    .group_segment_fixed_size: 512
    .kernarg_segment_align: 8
    .kernarg_segment_size: 20
    .language:       OpenCL C
    .language_version:
      - 2
      - 0
    .max_flat_workgroup_size: 256
    .name:           _Z6kernelI13subtract_leftLj256ELj16ELb0EJPaS1_jEEvDpT3_
    .private_segment_fixed_size: 0
    .sgpr_count:     10
    .sgpr_spill_count: 0
    .symbol:         _Z6kernelI13subtract_leftLj256ELj16ELb0EJPaS1_jEEvDpT3_.kd
    .uniform_work_group_size: 1
    .uses_dynamic_stack: false
    .vgpr_count:     36
    .vgpr_spill_count: 0
    .wavefront_size: 32
    .workgroup_processor_mode: 1
  - .args:
      - .address_space:  global
        .offset:         0
        .size:           8
        .value_kind:     global_buffer
      - .address_space:  global
        .offset:         8
        .size:           8
        .value_kind:     global_buffer
      - .offset:         16
        .size:           4
        .value_kind:     by_value
    .group_segment_fixed_size: 512
    .kernarg_segment_align: 8
    .kernarg_segment_size: 20
    .language:       OpenCL C
    .language_version:
      - 2
      - 0
    .max_flat_workgroup_size: 256
    .name:           _Z6kernelI13subtract_leftLj256ELj32ELb0EJPaS1_jEEvDpT3_
    .private_segment_fixed_size: 0
    .sgpr_count:     10
    .sgpr_spill_count: 0
    .symbol:         _Z6kernelI13subtract_leftLj256ELj32ELb0EJPaS1_jEEvDpT3_.kd
    .uniform_work_group_size: 1
    .uses_dynamic_stack: false
    .vgpr_count:     39
    .vgpr_spill_count: 0
    .wavefront_size: 32
    .workgroup_processor_mode: 1
  - .args:
      - .address_space:  global
        .offset:         0
        .size:           8
        .value_kind:     global_buffer
      - .address_space:  global
        .offset:         8
        .size:           8
        .value_kind:     global_buffer
      - .offset:         16
        .size:           4
        .value_kind:     by_value
    .group_segment_fixed_size: 4096
    .kernarg_segment_align: 8
    .kernarg_segment_size: 20
    .language:       OpenCL C
    .language_version:
      - 2
      - 0
    .max_flat_workgroup_size: 256
    .name:           _Z6kernelI13subtract_leftLj256ELj1ELb0EJPxS1_jEEvDpT3_
    .private_segment_fixed_size: 0
    .sgpr_count:     10
    .sgpr_spill_count: 0
    .symbol:         _Z6kernelI13subtract_leftLj256ELj1ELb0EJPxS1_jEEvDpT3_.kd
    .uniform_work_group_size: 1
    .uses_dynamic_stack: false
    .vgpr_count:     6
    .vgpr_spill_count: 0
    .wavefront_size: 32
    .workgroup_processor_mode: 1
  - .args:
      - .address_space:  global
        .offset:         0
        .size:           8
        .value_kind:     global_buffer
      - .address_space:  global
        .offset:         8
        .size:           8
        .value_kind:     global_buffer
      - .offset:         16
        .size:           4
        .value_kind:     by_value
    .group_segment_fixed_size: 4096
    .kernarg_segment_align: 8
    .kernarg_segment_size: 20
    .language:       OpenCL C
    .language_version:
      - 2
      - 0
    .max_flat_workgroup_size: 256
    .name:           _Z6kernelI13subtract_leftLj256ELj3ELb0EJPxS1_jEEvDpT3_
    .private_segment_fixed_size: 0
    .sgpr_count:     10
    .sgpr_spill_count: 0
    .symbol:         _Z6kernelI13subtract_leftLj256ELj3ELb0EJPxS1_jEEvDpT3_.kd
    .uniform_work_group_size: 1
    .uses_dynamic_stack: false
    .vgpr_count:     12
    .vgpr_spill_count: 0
    .wavefront_size: 32
    .workgroup_processor_mode: 1
  - .args:
      - .address_space:  global
        .offset:         0
        .size:           8
        .value_kind:     global_buffer
      - .address_space:  global
        .offset:         8
        .size:           8
        .value_kind:     global_buffer
      - .offset:         16
        .size:           4
        .value_kind:     by_value
    .group_segment_fixed_size: 4096
    .kernarg_segment_align: 8
    .kernarg_segment_size: 20
    .language:       OpenCL C
    .language_version:
      - 2
      - 0
    .max_flat_workgroup_size: 256
    .name:           _Z6kernelI13subtract_leftLj256ELj4ELb0EJPxS1_jEEvDpT3_
    .private_segment_fixed_size: 0
    .sgpr_count:     10
    .sgpr_spill_count: 0
    .symbol:         _Z6kernelI13subtract_leftLj256ELj4ELb0EJPxS1_jEEvDpT3_.kd
    .uniform_work_group_size: 1
    .uses_dynamic_stack: false
    .vgpr_count:     16
    .vgpr_spill_count: 0
    .wavefront_size: 32
    .workgroup_processor_mode: 1
  - .args:
      - .address_space:  global
        .offset:         0
        .size:           8
        .value_kind:     global_buffer
      - .address_space:  global
        .offset:         8
        .size:           8
        .value_kind:     global_buffer
      - .offset:         16
        .size:           4
        .value_kind:     by_value
    .group_segment_fixed_size: 4096
    .kernarg_segment_align: 8
    .kernarg_segment_size: 20
    .language:       OpenCL C
    .language_version:
      - 2
      - 0
    .max_flat_workgroup_size: 256
    .name:           _Z6kernelI13subtract_leftLj256ELj8ELb0EJPxS1_jEEvDpT3_
    .private_segment_fixed_size: 0
    .sgpr_count:     10
    .sgpr_spill_count: 0
    .symbol:         _Z6kernelI13subtract_leftLj256ELj8ELb0EJPxS1_jEEvDpT3_.kd
    .uniform_work_group_size: 1
    .uses_dynamic_stack: false
    .vgpr_count:     34
    .vgpr_spill_count: 0
    .wavefront_size: 32
    .workgroup_processor_mode: 1
  - .args:
      - .address_space:  global
        .offset:         0
        .size:           8
        .value_kind:     global_buffer
      - .address_space:  global
        .offset:         8
        .size:           8
        .value_kind:     global_buffer
      - .offset:         16
        .size:           4
        .value_kind:     by_value
    .group_segment_fixed_size: 4096
    .kernarg_segment_align: 8
    .kernarg_segment_size: 20
    .language:       OpenCL C
    .language_version:
      - 2
      - 0
    .max_flat_workgroup_size: 256
    .name:           _Z6kernelI13subtract_leftLj256ELj16ELb0EJPxS1_jEEvDpT3_
    .private_segment_fixed_size: 0
    .sgpr_count:     10
    .sgpr_spill_count: 0
    .symbol:         _Z6kernelI13subtract_leftLj256ELj16ELb0EJPxS1_jEEvDpT3_.kd
    .uniform_work_group_size: 1
    .uses_dynamic_stack: false
    .vgpr_count:     66
    .vgpr_spill_count: 0
    .wavefront_size: 32
    .workgroup_processor_mode: 1
  - .args:
      - .address_space:  global
        .offset:         0
        .size:           8
        .value_kind:     global_buffer
      - .address_space:  global
        .offset:         8
        .size:           8
        .value_kind:     global_buffer
      - .offset:         16
        .size:           4
        .value_kind:     by_value
    .group_segment_fixed_size: 4096
    .kernarg_segment_align: 8
    .kernarg_segment_size: 20
    .language:       OpenCL C
    .language_version:
      - 2
      - 0
    .max_flat_workgroup_size: 256
    .name:           _Z6kernelI13subtract_leftLj256ELj32ELb0EJPxS1_jEEvDpT3_
    .private_segment_fixed_size: 0
    .sgpr_count:     10
    .sgpr_spill_count: 0
    .symbol:         _Z6kernelI13subtract_leftLj256ELj32ELb0EJPxS1_jEEvDpT3_.kd
    .uniform_work_group_size: 1
    .uses_dynamic_stack: false
    .vgpr_count:     94
    .vgpr_spill_count: 0
    .wavefront_size: 32
    .workgroup_processor_mode: 1
  - .args:
      - .address_space:  global
        .offset:         0
        .size:           8
        .value_kind:     global_buffer
      - .address_space:  global
        .offset:         8
        .size:           8
        .value_kind:     global_buffer
      - .offset:         16
        .size:           4
        .value_kind:     by_value
    .group_segment_fixed_size: 4096
    .kernarg_segment_align: 8
    .kernarg_segment_size: 20
    .language:       OpenCL C
    .language_version:
      - 2
      - 0
    .max_flat_workgroup_size: 256
    .name:           _Z6kernelI13subtract_leftLj256ELj1ELb0EJPdS1_jEEvDpT3_
    .private_segment_fixed_size: 0
    .sgpr_count:     10
    .sgpr_spill_count: 0
    .symbol:         _Z6kernelI13subtract_leftLj256ELj1ELb0EJPdS1_jEEvDpT3_.kd
    .uniform_work_group_size: 1
    .uses_dynamic_stack: false
    .vgpr_count:     6
    .vgpr_spill_count: 0
    .wavefront_size: 32
    .workgroup_processor_mode: 1
  - .args:
      - .address_space:  global
        .offset:         0
        .size:           8
        .value_kind:     global_buffer
      - .address_space:  global
        .offset:         8
        .size:           8
        .value_kind:     global_buffer
      - .offset:         16
        .size:           4
        .value_kind:     by_value
    .group_segment_fixed_size: 4096
    .kernarg_segment_align: 8
    .kernarg_segment_size: 20
    .language:       OpenCL C
    .language_version:
      - 2
      - 0
    .max_flat_workgroup_size: 256
    .name:           _Z6kernelI13subtract_leftLj256ELj3ELb0EJPdS1_jEEvDpT3_
    .private_segment_fixed_size: 0
    .sgpr_count:     10
    .sgpr_spill_count: 0
    .symbol:         _Z6kernelI13subtract_leftLj256ELj3ELb0EJPdS1_jEEvDpT3_.kd
    .uniform_work_group_size: 1
    .uses_dynamic_stack: false
    .vgpr_count:     14
    .vgpr_spill_count: 0
    .wavefront_size: 32
    .workgroup_processor_mode: 1
  - .args:
      - .address_space:  global
        .offset:         0
        .size:           8
        .value_kind:     global_buffer
      - .address_space:  global
        .offset:         8
        .size:           8
        .value_kind:     global_buffer
      - .offset:         16
        .size:           4
        .value_kind:     by_value
    .group_segment_fixed_size: 4096
    .kernarg_segment_align: 8
    .kernarg_segment_size: 20
    .language:       OpenCL C
    .language_version:
      - 2
      - 0
    .max_flat_workgroup_size: 256
    .name:           _Z6kernelI13subtract_leftLj256ELj4ELb0EJPdS1_jEEvDpT3_
    .private_segment_fixed_size: 0
    .sgpr_count:     10
    .sgpr_spill_count: 0
    .symbol:         _Z6kernelI13subtract_leftLj256ELj4ELb0EJPdS1_jEEvDpT3_.kd
    .uniform_work_group_size: 1
    .uses_dynamic_stack: false
    .vgpr_count:     18
    .vgpr_spill_count: 0
    .wavefront_size: 32
    .workgroup_processor_mode: 1
  - .args:
      - .address_space:  global
        .offset:         0
        .size:           8
        .value_kind:     global_buffer
      - .address_space:  global
        .offset:         8
        .size:           8
        .value_kind:     global_buffer
      - .offset:         16
        .size:           4
        .value_kind:     by_value
    .group_segment_fixed_size: 4096
    .kernarg_segment_align: 8
    .kernarg_segment_size: 20
    .language:       OpenCL C
    .language_version:
      - 2
      - 0
    .max_flat_workgroup_size: 256
    .name:           _Z6kernelI13subtract_leftLj256ELj8ELb0EJPdS1_jEEvDpT3_
    .private_segment_fixed_size: 0
    .sgpr_count:     10
    .sgpr_spill_count: 0
    .symbol:         _Z6kernelI13subtract_leftLj256ELj8ELb0EJPdS1_jEEvDpT3_.kd
    .uniform_work_group_size: 1
    .uses_dynamic_stack: false
    .vgpr_count:     34
    .vgpr_spill_count: 0
    .wavefront_size: 32
    .workgroup_processor_mode: 1
  - .args:
      - .address_space:  global
        .offset:         0
        .size:           8
        .value_kind:     global_buffer
      - .address_space:  global
        .offset:         8
        .size:           8
        .value_kind:     global_buffer
      - .offset:         16
        .size:           4
        .value_kind:     by_value
    .group_segment_fixed_size: 4096
    .kernarg_segment_align: 8
    .kernarg_segment_size: 20
    .language:       OpenCL C
    .language_version:
      - 2
      - 0
    .max_flat_workgroup_size: 256
    .name:           _Z6kernelI13subtract_leftLj256ELj16ELb0EJPdS1_jEEvDpT3_
    .private_segment_fixed_size: 0
    .sgpr_count:     10
    .sgpr_spill_count: 0
    .symbol:         _Z6kernelI13subtract_leftLj256ELj16ELb0EJPdS1_jEEvDpT3_.kd
    .uniform_work_group_size: 1
    .uses_dynamic_stack: false
    .vgpr_count:     66
    .vgpr_spill_count: 0
    .wavefront_size: 32
    .workgroup_processor_mode: 1
  - .args:
      - .address_space:  global
        .offset:         0
        .size:           8
        .value_kind:     global_buffer
      - .address_space:  global
        .offset:         8
        .size:           8
        .value_kind:     global_buffer
      - .offset:         16
        .size:           4
        .value_kind:     by_value
    .group_segment_fixed_size: 4096
    .kernarg_segment_align: 8
    .kernarg_segment_size: 20
    .language:       OpenCL C
    .language_version:
      - 2
      - 0
    .max_flat_workgroup_size: 256
    .name:           _Z6kernelI13subtract_leftLj256ELj32ELb0EJPdS1_jEEvDpT3_
    .private_segment_fixed_size: 0
    .sgpr_count:     10
    .sgpr_spill_count: 0
    .symbol:         _Z6kernelI13subtract_leftLj256ELj32ELb0EJPdS1_jEEvDpT3_.kd
    .uniform_work_group_size: 1
    .uses_dynamic_stack: false
    .vgpr_count:     94
    .vgpr_spill_count: 0
    .wavefront_size: 32
    .workgroup_processor_mode: 1
  - .args:
      - .address_space:  global
        .offset:         0
        .size:           8
        .value_kind:     global_buffer
      - .address_space:  global
        .offset:         8
        .size:           8
        .value_kind:     global_buffer
      - .offset:         16
        .size:           4
        .value_kind:     by_value
    .group_segment_fixed_size: 2048
    .kernarg_segment_align: 8
    .kernarg_segment_size: 20
    .language:       OpenCL C
    .language_version:
      - 2
      - 0
    .max_flat_workgroup_size: 256
    .name:           _Z6kernelI13subtract_leftLj256ELj1ELb1EJPiS1_jEEvDpT3_
    .private_segment_fixed_size: 0
    .sgpr_count:     10
    .sgpr_spill_count: 0
    .symbol:         _Z6kernelI13subtract_leftLj256ELj1ELb1EJPiS1_jEEvDpT3_.kd
    .uniform_work_group_size: 1
    .uses_dynamic_stack: false
    .vgpr_count:     4
    .vgpr_spill_count: 0
    .wavefront_size: 32
    .workgroup_processor_mode: 1
  - .args:
      - .address_space:  global
        .offset:         0
        .size:           8
        .value_kind:     global_buffer
      - .address_space:  global
        .offset:         8
        .size:           8
        .value_kind:     global_buffer
      - .offset:         16
        .size:           4
        .value_kind:     by_value
    .group_segment_fixed_size: 2048
    .kernarg_segment_align: 8
    .kernarg_segment_size: 20
    .language:       OpenCL C
    .language_version:
      - 2
      - 0
    .max_flat_workgroup_size: 256
    .name:           _Z6kernelI13subtract_leftLj256ELj3ELb1EJPiS1_jEEvDpT3_
    .private_segment_fixed_size: 0
    .sgpr_count:     10
    .sgpr_spill_count: 0
    .symbol:         _Z6kernelI13subtract_leftLj256ELj3ELb1EJPiS1_jEEvDpT3_.kd
    .uniform_work_group_size: 1
    .uses_dynamic_stack: false
    .vgpr_count:     8
    .vgpr_spill_count: 0
    .wavefront_size: 32
    .workgroup_processor_mode: 1
  - .args:
      - .address_space:  global
        .offset:         0
        .size:           8
        .value_kind:     global_buffer
      - .address_space:  global
        .offset:         8
        .size:           8
        .value_kind:     global_buffer
      - .offset:         16
        .size:           4
        .value_kind:     by_value
    .group_segment_fixed_size: 2048
    .kernarg_segment_align: 8
    .kernarg_segment_size: 20
    .language:       OpenCL C
    .language_version:
      - 2
      - 0
    .max_flat_workgroup_size: 256
    .name:           _Z6kernelI13subtract_leftLj256ELj4ELb1EJPiS1_jEEvDpT3_
    .private_segment_fixed_size: 0
    .sgpr_count:     10
    .sgpr_spill_count: 0
    .symbol:         _Z6kernelI13subtract_leftLj256ELj4ELb1EJPiS1_jEEvDpT3_.kd
    .uniform_work_group_size: 1
    .uses_dynamic_stack: false
    .vgpr_count:     11
    .vgpr_spill_count: 0
    .wavefront_size: 32
    .workgroup_processor_mode: 1
  - .args:
      - .address_space:  global
        .offset:         0
        .size:           8
        .value_kind:     global_buffer
      - .address_space:  global
        .offset:         8
        .size:           8
        .value_kind:     global_buffer
      - .offset:         16
        .size:           4
        .value_kind:     by_value
    .group_segment_fixed_size: 2048
    .kernarg_segment_align: 8
    .kernarg_segment_size: 20
    .language:       OpenCL C
    .language_version:
      - 2
      - 0
    .max_flat_workgroup_size: 256
    .name:           _Z6kernelI13subtract_leftLj256ELj8ELb1EJPiS1_jEEvDpT3_
    .private_segment_fixed_size: 0
    .sgpr_count:     10
    .sgpr_spill_count: 0
    .symbol:         _Z6kernelI13subtract_leftLj256ELj8ELb1EJPiS1_jEEvDpT3_.kd
    .uniform_work_group_size: 1
    .uses_dynamic_stack: false
    .vgpr_count:     18
    .vgpr_spill_count: 0
    .wavefront_size: 32
    .workgroup_processor_mode: 1
  - .args:
      - .address_space:  global
        .offset:         0
        .size:           8
        .value_kind:     global_buffer
      - .address_space:  global
        .offset:         8
        .size:           8
        .value_kind:     global_buffer
      - .offset:         16
        .size:           4
        .value_kind:     by_value
    .group_segment_fixed_size: 2048
    .kernarg_segment_align: 8
    .kernarg_segment_size: 20
    .language:       OpenCL C
    .language_version:
      - 2
      - 0
    .max_flat_workgroup_size: 256
    .name:           _Z6kernelI13subtract_leftLj256ELj16ELb1EJPiS1_jEEvDpT3_
    .private_segment_fixed_size: 0
    .sgpr_count:     10
    .sgpr_spill_count: 0
    .symbol:         _Z6kernelI13subtract_leftLj256ELj16ELb1EJPiS1_jEEvDpT3_.kd
    .uniform_work_group_size: 1
    .uses_dynamic_stack: false
    .vgpr_count:     34
    .vgpr_spill_count: 0
    .wavefront_size: 32
    .workgroup_processor_mode: 1
  - .args:
      - .address_space:  global
        .offset:         0
        .size:           8
        .value_kind:     global_buffer
      - .address_space:  global
        .offset:         8
        .size:           8
        .value_kind:     global_buffer
      - .offset:         16
        .size:           4
        .value_kind:     by_value
    .group_segment_fixed_size: 2048
    .kernarg_segment_align: 8
    .kernarg_segment_size: 20
    .language:       OpenCL C
    .language_version:
      - 2
      - 0
    .max_flat_workgroup_size: 256
    .name:           _Z6kernelI13subtract_leftLj256ELj32ELb1EJPiS1_jEEvDpT3_
    .private_segment_fixed_size: 0
    .sgpr_count:     10
    .sgpr_spill_count: 0
    .symbol:         _Z6kernelI13subtract_leftLj256ELj32ELb1EJPiS1_jEEvDpT3_.kd
    .uniform_work_group_size: 1
    .uses_dynamic_stack: false
    .vgpr_count:     66
    .vgpr_spill_count: 0
    .wavefront_size: 32
    .workgroup_processor_mode: 1
  - .args:
      - .address_space:  global
        .offset:         0
        .size:           8
        .value_kind:     global_buffer
      - .address_space:  global
        .offset:         8
        .size:           8
        .value_kind:     global_buffer
      - .offset:         16
        .size:           4
        .value_kind:     by_value
    .group_segment_fixed_size: 2048
    .kernarg_segment_align: 8
    .kernarg_segment_size: 20
    .language:       OpenCL C
    .language_version:
      - 2
      - 0
    .max_flat_workgroup_size: 256
    .name:           _Z6kernelI13subtract_leftLj256ELj1ELb1EJPfS1_jEEvDpT3_
    .private_segment_fixed_size: 0
    .sgpr_count:     10
    .sgpr_spill_count: 0
    .symbol:         _Z6kernelI13subtract_leftLj256ELj1ELb1EJPfS1_jEEvDpT3_.kd
    .uniform_work_group_size: 1
    .uses_dynamic_stack: false
    .vgpr_count:     4
    .vgpr_spill_count: 0
    .wavefront_size: 32
    .workgroup_processor_mode: 1
  - .args:
      - .address_space:  global
        .offset:         0
        .size:           8
        .value_kind:     global_buffer
      - .address_space:  global
        .offset:         8
        .size:           8
        .value_kind:     global_buffer
      - .offset:         16
        .size:           4
        .value_kind:     by_value
    .group_segment_fixed_size: 2048
    .kernarg_segment_align: 8
    .kernarg_segment_size: 20
    .language:       OpenCL C
    .language_version:
      - 2
      - 0
    .max_flat_workgroup_size: 256
    .name:           _Z6kernelI13subtract_leftLj256ELj3ELb1EJPfS1_jEEvDpT3_
    .private_segment_fixed_size: 0
    .sgpr_count:     10
    .sgpr_spill_count: 0
    .symbol:         _Z6kernelI13subtract_leftLj256ELj3ELb1EJPfS1_jEEvDpT3_.kd
    .uniform_work_group_size: 1
    .uses_dynamic_stack: false
    .vgpr_count:     8
    .vgpr_spill_count: 0
    .wavefront_size: 32
    .workgroup_processor_mode: 1
  - .args:
      - .address_space:  global
        .offset:         0
        .size:           8
        .value_kind:     global_buffer
      - .address_space:  global
        .offset:         8
        .size:           8
        .value_kind:     global_buffer
      - .offset:         16
        .size:           4
        .value_kind:     by_value
    .group_segment_fixed_size: 2048
    .kernarg_segment_align: 8
    .kernarg_segment_size: 20
    .language:       OpenCL C
    .language_version:
      - 2
      - 0
    .max_flat_workgroup_size: 256
    .name:           _Z6kernelI13subtract_leftLj256ELj4ELb1EJPfS1_jEEvDpT3_
    .private_segment_fixed_size: 0
    .sgpr_count:     10
    .sgpr_spill_count: 0
    .symbol:         _Z6kernelI13subtract_leftLj256ELj4ELb1EJPfS1_jEEvDpT3_.kd
    .uniform_work_group_size: 1
    .uses_dynamic_stack: false
    .vgpr_count:     10
    .vgpr_spill_count: 0
    .wavefront_size: 32
    .workgroup_processor_mode: 1
  - .args:
      - .address_space:  global
        .offset:         0
        .size:           8
        .value_kind:     global_buffer
      - .address_space:  global
        .offset:         8
        .size:           8
        .value_kind:     global_buffer
      - .offset:         16
        .size:           4
        .value_kind:     by_value
    .group_segment_fixed_size: 2048
    .kernarg_segment_align: 8
    .kernarg_segment_size: 20
    .language:       OpenCL C
    .language_version:
      - 2
      - 0
    .max_flat_workgroup_size: 256
    .name:           _Z6kernelI13subtract_leftLj256ELj8ELb1EJPfS1_jEEvDpT3_
    .private_segment_fixed_size: 0
    .sgpr_count:     10
    .sgpr_spill_count: 0
    .symbol:         _Z6kernelI13subtract_leftLj256ELj8ELb1EJPfS1_jEEvDpT3_.kd
    .uniform_work_group_size: 1
    .uses_dynamic_stack: false
    .vgpr_count:     18
    .vgpr_spill_count: 0
    .wavefront_size: 32
    .workgroup_processor_mode: 1
  - .args:
      - .address_space:  global
        .offset:         0
        .size:           8
        .value_kind:     global_buffer
      - .address_space:  global
        .offset:         8
        .size:           8
        .value_kind:     global_buffer
      - .offset:         16
        .size:           4
        .value_kind:     by_value
    .group_segment_fixed_size: 2048
    .kernarg_segment_align: 8
    .kernarg_segment_size: 20
    .language:       OpenCL C
    .language_version:
      - 2
      - 0
    .max_flat_workgroup_size: 256
    .name:           _Z6kernelI13subtract_leftLj256ELj16ELb1EJPfS1_jEEvDpT3_
    .private_segment_fixed_size: 0
    .sgpr_count:     10
    .sgpr_spill_count: 0
    .symbol:         _Z6kernelI13subtract_leftLj256ELj16ELb1EJPfS1_jEEvDpT3_.kd
    .uniform_work_group_size: 1
    .uses_dynamic_stack: false
    .vgpr_count:     34
    .vgpr_spill_count: 0
    .wavefront_size: 32
    .workgroup_processor_mode: 1
  - .args:
      - .address_space:  global
        .offset:         0
        .size:           8
        .value_kind:     global_buffer
      - .address_space:  global
        .offset:         8
        .size:           8
        .value_kind:     global_buffer
      - .offset:         16
        .size:           4
        .value_kind:     by_value
    .group_segment_fixed_size: 2048
    .kernarg_segment_align: 8
    .kernarg_segment_size: 20
    .language:       OpenCL C
    .language_version:
      - 2
      - 0
    .max_flat_workgroup_size: 256
    .name:           _Z6kernelI13subtract_leftLj256ELj32ELb1EJPfS1_jEEvDpT3_
    .private_segment_fixed_size: 0
    .sgpr_count:     10
    .sgpr_spill_count: 0
    .symbol:         _Z6kernelI13subtract_leftLj256ELj32ELb1EJPfS1_jEEvDpT3_.kd
    .uniform_work_group_size: 1
    .uses_dynamic_stack: false
    .vgpr_count:     66
    .vgpr_spill_count: 0
    .wavefront_size: 32
    .workgroup_processor_mode: 1
  - .args:
      - .address_space:  global
        .offset:         0
        .size:           8
        .value_kind:     global_buffer
      - .address_space:  global
        .offset:         8
        .size:           8
        .value_kind:     global_buffer
      - .offset:         16
        .size:           4
        .value_kind:     by_value
    .group_segment_fixed_size: 512
    .kernarg_segment_align: 8
    .kernarg_segment_size: 20
    .language:       OpenCL C
    .language_version:
      - 2
      - 0
    .max_flat_workgroup_size: 256
    .name:           _Z6kernelI13subtract_leftLj256ELj1ELb1EJPaS1_jEEvDpT3_
    .private_segment_fixed_size: 0
    .sgpr_count:     10
    .sgpr_spill_count: 0
    .symbol:         _Z6kernelI13subtract_leftLj256ELj1ELb1EJPaS1_jEEvDpT3_.kd
    .uniform_work_group_size: 1
    .uses_dynamic_stack: false
    .vgpr_count:     4
    .vgpr_spill_count: 0
    .wavefront_size: 32
    .workgroup_processor_mode: 1
  - .args:
      - .address_space:  global
        .offset:         0
        .size:           8
        .value_kind:     global_buffer
      - .address_space:  global
        .offset:         8
        .size:           8
        .value_kind:     global_buffer
      - .offset:         16
        .size:           4
        .value_kind:     by_value
    .group_segment_fixed_size: 512
    .kernarg_segment_align: 8
    .kernarg_segment_size: 20
    .language:       OpenCL C
    .language_version:
      - 2
      - 0
    .max_flat_workgroup_size: 256
    .name:           _Z6kernelI13subtract_leftLj256ELj3ELb1EJPaS1_jEEvDpT3_
    .private_segment_fixed_size: 0
    .sgpr_count:     10
    .sgpr_spill_count: 0
    .symbol:         _Z6kernelI13subtract_leftLj256ELj3ELb1EJPaS1_jEEvDpT3_.kd
    .uniform_work_group_size: 1
    .uses_dynamic_stack: false
    .vgpr_count:     8
    .vgpr_spill_count: 0
    .wavefront_size: 32
    .workgroup_processor_mode: 1
  - .args:
      - .address_space:  global
        .offset:         0
        .size:           8
        .value_kind:     global_buffer
      - .address_space:  global
        .offset:         8
        .size:           8
        .value_kind:     global_buffer
      - .offset:         16
        .size:           4
        .value_kind:     by_value
    .group_segment_fixed_size: 512
    .kernarg_segment_align: 8
    .kernarg_segment_size: 20
    .language:       OpenCL C
    .language_version:
      - 2
      - 0
    .max_flat_workgroup_size: 256
    .name:           _Z6kernelI13subtract_leftLj256ELj4ELb1EJPaS1_jEEvDpT3_
    .private_segment_fixed_size: 0
    .sgpr_count:     10
    .sgpr_spill_count: 0
    .symbol:         _Z6kernelI13subtract_leftLj256ELj4ELb1EJPaS1_jEEvDpT3_.kd
    .uniform_work_group_size: 1
    .uses_dynamic_stack: false
    .vgpr_count:     10
    .vgpr_spill_count: 0
    .wavefront_size: 32
    .workgroup_processor_mode: 1
  - .args:
      - .address_space:  global
        .offset:         0
        .size:           8
        .value_kind:     global_buffer
      - .address_space:  global
        .offset:         8
        .size:           8
        .value_kind:     global_buffer
      - .offset:         16
        .size:           4
        .value_kind:     by_value
    .group_segment_fixed_size: 512
    .kernarg_segment_align: 8
    .kernarg_segment_size: 20
    .language:       OpenCL C
    .language_version:
      - 2
      - 0
    .max_flat_workgroup_size: 256
    .name:           _Z6kernelI13subtract_leftLj256ELj8ELb1EJPaS1_jEEvDpT3_
    .private_segment_fixed_size: 0
    .sgpr_count:     10
    .sgpr_spill_count: 0
    .symbol:         _Z6kernelI13subtract_leftLj256ELj8ELb1EJPaS1_jEEvDpT3_.kd
    .uniform_work_group_size: 1
    .uses_dynamic_stack: false
    .vgpr_count:     15
    .vgpr_spill_count: 0
    .wavefront_size: 32
    .workgroup_processor_mode: 1
  - .args:
      - .address_space:  global
        .offset:         0
        .size:           8
        .value_kind:     global_buffer
      - .address_space:  global
        .offset:         8
        .size:           8
        .value_kind:     global_buffer
      - .offset:         16
        .size:           4
        .value_kind:     by_value
    .group_segment_fixed_size: 512
    .kernarg_segment_align: 8
    .kernarg_segment_size: 20
    .language:       OpenCL C
    .language_version:
      - 2
      - 0
    .max_flat_workgroup_size: 256
    .name:           _Z6kernelI13subtract_leftLj256ELj16ELb1EJPaS1_jEEvDpT3_
    .private_segment_fixed_size: 0
    .sgpr_count:     10
    .sgpr_spill_count: 0
    .symbol:         _Z6kernelI13subtract_leftLj256ELj16ELb1EJPaS1_jEEvDpT3_.kd
    .uniform_work_group_size: 1
    .uses_dynamic_stack: false
    .vgpr_count:     22
    .vgpr_spill_count: 0
    .wavefront_size: 32
    .workgroup_processor_mode: 1
  - .args:
      - .address_space:  global
        .offset:         0
        .size:           8
        .value_kind:     global_buffer
      - .address_space:  global
        .offset:         8
        .size:           8
        .value_kind:     global_buffer
      - .offset:         16
        .size:           4
        .value_kind:     by_value
    .group_segment_fixed_size: 512
    .kernarg_segment_align: 8
    .kernarg_segment_size: 20
    .language:       OpenCL C
    .language_version:
      - 2
      - 0
    .max_flat_workgroup_size: 256
    .name:           _Z6kernelI13subtract_leftLj256ELj32ELb1EJPaS1_jEEvDpT3_
    .private_segment_fixed_size: 0
    .sgpr_count:     10
    .sgpr_spill_count: 0
    .symbol:         _Z6kernelI13subtract_leftLj256ELj32ELb1EJPaS1_jEEvDpT3_.kd
    .uniform_work_group_size: 1
    .uses_dynamic_stack: false
    .vgpr_count:     35
    .vgpr_spill_count: 0
    .wavefront_size: 32
    .workgroup_processor_mode: 1
  - .args:
      - .address_space:  global
        .offset:         0
        .size:           8
        .value_kind:     global_buffer
      - .address_space:  global
        .offset:         8
        .size:           8
        .value_kind:     global_buffer
      - .offset:         16
        .size:           4
        .value_kind:     by_value
    .group_segment_fixed_size: 4096
    .kernarg_segment_align: 8
    .kernarg_segment_size: 20
    .language:       OpenCL C
    .language_version:
      - 2
      - 0
    .max_flat_workgroup_size: 256
    .name:           _Z6kernelI13subtract_leftLj256ELj1ELb1EJPxS1_jEEvDpT3_
    .private_segment_fixed_size: 0
    .sgpr_count:     10
    .sgpr_spill_count: 0
    .symbol:         _Z6kernelI13subtract_leftLj256ELj1ELb1EJPxS1_jEEvDpT3_.kd
    .uniform_work_group_size: 1
    .uses_dynamic_stack: false
    .vgpr_count:     6
    .vgpr_spill_count: 0
    .wavefront_size: 32
    .workgroup_processor_mode: 1
  - .args:
      - .address_space:  global
        .offset:         0
        .size:           8
        .value_kind:     global_buffer
      - .address_space:  global
        .offset:         8
        .size:           8
        .value_kind:     global_buffer
      - .offset:         16
        .size:           4
        .value_kind:     by_value
    .group_segment_fixed_size: 4096
    .kernarg_segment_align: 8
    .kernarg_segment_size: 20
    .language:       OpenCL C
    .language_version:
      - 2
      - 0
    .max_flat_workgroup_size: 256
    .name:           _Z6kernelI13subtract_leftLj256ELj3ELb1EJPxS1_jEEvDpT3_
    .private_segment_fixed_size: 0
    .sgpr_count:     10
    .sgpr_spill_count: 0
    .symbol:         _Z6kernelI13subtract_leftLj256ELj3ELb1EJPxS1_jEEvDpT3_.kd
    .uniform_work_group_size: 1
    .uses_dynamic_stack: false
    .vgpr_count:     14
    .vgpr_spill_count: 0
    .wavefront_size: 32
    .workgroup_processor_mode: 1
  - .args:
      - .address_space:  global
        .offset:         0
        .size:           8
        .value_kind:     global_buffer
      - .address_space:  global
        .offset:         8
        .size:           8
        .value_kind:     global_buffer
      - .offset:         16
        .size:           4
        .value_kind:     by_value
    .group_segment_fixed_size: 4096
    .kernarg_segment_align: 8
    .kernarg_segment_size: 20
    .language:       OpenCL C
    .language_version:
      - 2
      - 0
    .max_flat_workgroup_size: 256
    .name:           _Z6kernelI13subtract_leftLj256ELj4ELb1EJPxS1_jEEvDpT3_
    .private_segment_fixed_size: 0
    .sgpr_count:     10
    .sgpr_spill_count: 0
    .symbol:         _Z6kernelI13subtract_leftLj256ELj4ELb1EJPxS1_jEEvDpT3_.kd
    .uniform_work_group_size: 1
    .uses_dynamic_stack: false
    .vgpr_count:     18
    .vgpr_spill_count: 0
    .wavefront_size: 32
    .workgroup_processor_mode: 1
  - .args:
      - .address_space:  global
        .offset:         0
        .size:           8
        .value_kind:     global_buffer
      - .address_space:  global
        .offset:         8
        .size:           8
        .value_kind:     global_buffer
      - .offset:         16
        .size:           4
        .value_kind:     by_value
    .group_segment_fixed_size: 4096
    .kernarg_segment_align: 8
    .kernarg_segment_size: 20
    .language:       OpenCL C
    .language_version:
      - 2
      - 0
    .max_flat_workgroup_size: 256
    .name:           _Z6kernelI13subtract_leftLj256ELj8ELb1EJPxS1_jEEvDpT3_
    .private_segment_fixed_size: 0
    .sgpr_count:     10
    .sgpr_spill_count: 0
    .symbol:         _Z6kernelI13subtract_leftLj256ELj8ELb1EJPxS1_jEEvDpT3_.kd
    .uniform_work_group_size: 1
    .uses_dynamic_stack: false
    .vgpr_count:     34
    .vgpr_spill_count: 0
    .wavefront_size: 32
    .workgroup_processor_mode: 1
  - .args:
      - .address_space:  global
        .offset:         0
        .size:           8
        .value_kind:     global_buffer
      - .address_space:  global
        .offset:         8
        .size:           8
        .value_kind:     global_buffer
      - .offset:         16
        .size:           4
        .value_kind:     by_value
    .group_segment_fixed_size: 4096
    .kernarg_segment_align: 8
    .kernarg_segment_size: 20
    .language:       OpenCL C
    .language_version:
      - 2
      - 0
    .max_flat_workgroup_size: 256
    .name:           _Z6kernelI13subtract_leftLj256ELj16ELb1EJPxS1_jEEvDpT3_
    .private_segment_fixed_size: 0
    .sgpr_count:     10
    .sgpr_spill_count: 0
    .symbol:         _Z6kernelI13subtract_leftLj256ELj16ELb1EJPxS1_jEEvDpT3_.kd
    .uniform_work_group_size: 1
    .uses_dynamic_stack: false
    .vgpr_count:     66
    .vgpr_spill_count: 0
    .wavefront_size: 32
    .workgroup_processor_mode: 1
  - .args:
      - .address_space:  global
        .offset:         0
        .size:           8
        .value_kind:     global_buffer
      - .address_space:  global
        .offset:         8
        .size:           8
        .value_kind:     global_buffer
      - .offset:         16
        .size:           4
        .value_kind:     by_value
    .group_segment_fixed_size: 4096
    .kernarg_segment_align: 8
    .kernarg_segment_size: 20
    .language:       OpenCL C
    .language_version:
      - 2
      - 0
    .max_flat_workgroup_size: 256
    .name:           _Z6kernelI13subtract_leftLj256ELj32ELb1EJPxS1_jEEvDpT3_
    .private_segment_fixed_size: 0
    .sgpr_count:     10
    .sgpr_spill_count: 0
    .symbol:         _Z6kernelI13subtract_leftLj256ELj32ELb1EJPxS1_jEEvDpT3_.kd
    .uniform_work_group_size: 1
    .uses_dynamic_stack: false
    .vgpr_count:     94
    .vgpr_spill_count: 0
    .wavefront_size: 32
    .workgroup_processor_mode: 1
  - .args:
      - .address_space:  global
        .offset:         0
        .size:           8
        .value_kind:     global_buffer
      - .address_space:  global
        .offset:         8
        .size:           8
        .value_kind:     global_buffer
      - .offset:         16
        .size:           4
        .value_kind:     by_value
    .group_segment_fixed_size: 4096
    .kernarg_segment_align: 8
    .kernarg_segment_size: 20
    .language:       OpenCL C
    .language_version:
      - 2
      - 0
    .max_flat_workgroup_size: 256
    .name:           _Z6kernelI13subtract_leftLj256ELj1ELb1EJPdS1_jEEvDpT3_
    .private_segment_fixed_size: 0
    .sgpr_count:     10
    .sgpr_spill_count: 0
    .symbol:         _Z6kernelI13subtract_leftLj256ELj1ELb1EJPdS1_jEEvDpT3_.kd
    .uniform_work_group_size: 1
    .uses_dynamic_stack: false
    .vgpr_count:     6
    .vgpr_spill_count: 0
    .wavefront_size: 32
    .workgroup_processor_mode: 1
  - .args:
      - .address_space:  global
        .offset:         0
        .size:           8
        .value_kind:     global_buffer
      - .address_space:  global
        .offset:         8
        .size:           8
        .value_kind:     global_buffer
      - .offset:         16
        .size:           4
        .value_kind:     by_value
    .group_segment_fixed_size: 4096
    .kernarg_segment_align: 8
    .kernarg_segment_size: 20
    .language:       OpenCL C
    .language_version:
      - 2
      - 0
    .max_flat_workgroup_size: 256
    .name:           _Z6kernelI13subtract_leftLj256ELj3ELb1EJPdS1_jEEvDpT3_
    .private_segment_fixed_size: 0
    .sgpr_count:     10
    .sgpr_spill_count: 0
    .symbol:         _Z6kernelI13subtract_leftLj256ELj3ELb1EJPdS1_jEEvDpT3_.kd
    .uniform_work_group_size: 1
    .uses_dynamic_stack: false
    .vgpr_count:     14
    .vgpr_spill_count: 0
    .wavefront_size: 32
    .workgroup_processor_mode: 1
  - .args:
      - .address_space:  global
        .offset:         0
        .size:           8
        .value_kind:     global_buffer
      - .address_space:  global
        .offset:         8
        .size:           8
        .value_kind:     global_buffer
      - .offset:         16
        .size:           4
        .value_kind:     by_value
    .group_segment_fixed_size: 4096
    .kernarg_segment_align: 8
    .kernarg_segment_size: 20
    .language:       OpenCL C
    .language_version:
      - 2
      - 0
    .max_flat_workgroup_size: 256
    .name:           _Z6kernelI13subtract_leftLj256ELj4ELb1EJPdS1_jEEvDpT3_
    .private_segment_fixed_size: 0
    .sgpr_count:     10
    .sgpr_spill_count: 0
    .symbol:         _Z6kernelI13subtract_leftLj256ELj4ELb1EJPdS1_jEEvDpT3_.kd
    .uniform_work_group_size: 1
    .uses_dynamic_stack: false
    .vgpr_count:     18
    .vgpr_spill_count: 0
    .wavefront_size: 32
    .workgroup_processor_mode: 1
  - .args:
      - .address_space:  global
        .offset:         0
        .size:           8
        .value_kind:     global_buffer
      - .address_space:  global
        .offset:         8
        .size:           8
        .value_kind:     global_buffer
      - .offset:         16
        .size:           4
        .value_kind:     by_value
    .group_segment_fixed_size: 4096
    .kernarg_segment_align: 8
    .kernarg_segment_size: 20
    .language:       OpenCL C
    .language_version:
      - 2
      - 0
    .max_flat_workgroup_size: 256
    .name:           _Z6kernelI13subtract_leftLj256ELj8ELb1EJPdS1_jEEvDpT3_
    .private_segment_fixed_size: 0
    .sgpr_count:     10
    .sgpr_spill_count: 0
    .symbol:         _Z6kernelI13subtract_leftLj256ELj8ELb1EJPdS1_jEEvDpT3_.kd
    .uniform_work_group_size: 1
    .uses_dynamic_stack: false
    .vgpr_count:     34
    .vgpr_spill_count: 0
    .wavefront_size: 32
    .workgroup_processor_mode: 1
  - .args:
      - .address_space:  global
        .offset:         0
        .size:           8
        .value_kind:     global_buffer
      - .address_space:  global
        .offset:         8
        .size:           8
        .value_kind:     global_buffer
      - .offset:         16
        .size:           4
        .value_kind:     by_value
    .group_segment_fixed_size: 4096
    .kernarg_segment_align: 8
    .kernarg_segment_size: 20
    .language:       OpenCL C
    .language_version:
      - 2
      - 0
    .max_flat_workgroup_size: 256
    .name:           _Z6kernelI13subtract_leftLj256ELj16ELb1EJPdS1_jEEvDpT3_
    .private_segment_fixed_size: 0
    .sgpr_count:     10
    .sgpr_spill_count: 0
    .symbol:         _Z6kernelI13subtract_leftLj256ELj16ELb1EJPdS1_jEEvDpT3_.kd
    .uniform_work_group_size: 1
    .uses_dynamic_stack: false
    .vgpr_count:     66
    .vgpr_spill_count: 0
    .wavefront_size: 32
    .workgroup_processor_mode: 1
  - .args:
      - .address_space:  global
        .offset:         0
        .size:           8
        .value_kind:     global_buffer
      - .address_space:  global
        .offset:         8
        .size:           8
        .value_kind:     global_buffer
      - .offset:         16
        .size:           4
        .value_kind:     by_value
    .group_segment_fixed_size: 4096
    .kernarg_segment_align: 8
    .kernarg_segment_size: 20
    .language:       OpenCL C
    .language_version:
      - 2
      - 0
    .max_flat_workgroup_size: 256
    .name:           _Z6kernelI13subtract_leftLj256ELj32ELb1EJPdS1_jEEvDpT3_
    .private_segment_fixed_size: 0
    .sgpr_count:     10
    .sgpr_spill_count: 0
    .symbol:         _Z6kernelI13subtract_leftLj256ELj32ELb1EJPdS1_jEEvDpT3_.kd
    .uniform_work_group_size: 1
    .uses_dynamic_stack: false
    .vgpr_count:     94
    .vgpr_spill_count: 0
    .wavefront_size: 32
    .workgroup_processor_mode: 1
  - .args:
      - .address_space:  global
        .offset:         0
        .size:           8
        .value_kind:     global_buffer
      - .address_space:  global
        .offset:         8
        .size:           8
        .value_kind:     global_buffer
      - .offset:         16
        .size:           4
        .value_kind:     by_value
    .group_segment_fixed_size: 2048
    .kernarg_segment_align: 8
    .kernarg_segment_size: 20
    .language:       OpenCL C
    .language_version:
      - 2
      - 0
    .max_flat_workgroup_size: 256
    .name:           _Z6kernelI14subtract_rightLj256ELj1ELb0EJPiS1_jEEvDpT3_
    .private_segment_fixed_size: 0
    .sgpr_count:     10
    .sgpr_spill_count: 0
    .symbol:         _Z6kernelI14subtract_rightLj256ELj1ELb0EJPiS1_jEEvDpT3_.kd
    .uniform_work_group_size: 1
    .uses_dynamic_stack: false
    .vgpr_count:     3
    .vgpr_spill_count: 0
    .wavefront_size: 32
    .workgroup_processor_mode: 1
  - .args:
      - .address_space:  global
        .offset:         0
        .size:           8
        .value_kind:     global_buffer
      - .address_space:  global
        .offset:         8
        .size:           8
        .value_kind:     global_buffer
      - .offset:         16
        .size:           4
        .value_kind:     by_value
    .group_segment_fixed_size: 2048
    .kernarg_segment_align: 8
    .kernarg_segment_size: 20
    .language:       OpenCL C
    .language_version:
      - 2
      - 0
    .max_flat_workgroup_size: 256
    .name:           _Z6kernelI14subtract_rightLj256ELj3ELb0EJPiS1_jEEvDpT3_
    .private_segment_fixed_size: 0
    .sgpr_count:     10
    .sgpr_spill_count: 0
    .symbol:         _Z6kernelI14subtract_rightLj256ELj3ELb0EJPiS1_jEEvDpT3_.kd
    .uniform_work_group_size: 1
    .uses_dynamic_stack: false
    .vgpr_count:     7
    .vgpr_spill_count: 0
    .wavefront_size: 32
    .workgroup_processor_mode: 1
  - .args:
      - .address_space:  global
        .offset:         0
        .size:           8
        .value_kind:     global_buffer
      - .address_space:  global
        .offset:         8
        .size:           8
        .value_kind:     global_buffer
      - .offset:         16
        .size:           4
        .value_kind:     by_value
    .group_segment_fixed_size: 2048
    .kernarg_segment_align: 8
    .kernarg_segment_size: 20
    .language:       OpenCL C
    .language_version:
      - 2
      - 0
    .max_flat_workgroup_size: 256
    .name:           _Z6kernelI14subtract_rightLj256ELj4ELb0EJPiS1_jEEvDpT3_
    .private_segment_fixed_size: 0
    .sgpr_count:     10
    .sgpr_spill_count: 0
    .symbol:         _Z6kernelI14subtract_rightLj256ELj4ELb0EJPiS1_jEEvDpT3_.kd
    .uniform_work_group_size: 1
    .uses_dynamic_stack: false
    .vgpr_count:     9
    .vgpr_spill_count: 0
    .wavefront_size: 32
    .workgroup_processor_mode: 1
  - .args:
      - .address_space:  global
        .offset:         0
        .size:           8
        .value_kind:     global_buffer
      - .address_space:  global
        .offset:         8
        .size:           8
        .value_kind:     global_buffer
      - .offset:         16
        .size:           4
        .value_kind:     by_value
    .group_segment_fixed_size: 2048
    .kernarg_segment_align: 8
    .kernarg_segment_size: 20
    .language:       OpenCL C
    .language_version:
      - 2
      - 0
    .max_flat_workgroup_size: 256
    .name:           _Z6kernelI14subtract_rightLj256ELj8ELb0EJPiS1_jEEvDpT3_
    .private_segment_fixed_size: 0
    .sgpr_count:     10
    .sgpr_spill_count: 0
    .symbol:         _Z6kernelI14subtract_rightLj256ELj8ELb0EJPiS1_jEEvDpT3_.kd
    .uniform_work_group_size: 1
    .uses_dynamic_stack: false
    .vgpr_count:     15
    .vgpr_spill_count: 0
    .wavefront_size: 32
    .workgroup_processor_mode: 1
  - .args:
      - .address_space:  global
        .offset:         0
        .size:           8
        .value_kind:     global_buffer
      - .address_space:  global
        .offset:         8
        .size:           8
        .value_kind:     global_buffer
      - .offset:         16
        .size:           4
        .value_kind:     by_value
    .group_segment_fixed_size: 2048
    .kernarg_segment_align: 8
    .kernarg_segment_size: 20
    .language:       OpenCL C
    .language_version:
      - 2
      - 0
    .max_flat_workgroup_size: 256
    .name:           _Z6kernelI14subtract_rightLj256ELj16ELb0EJPiS1_jEEvDpT3_
    .private_segment_fixed_size: 0
    .sgpr_count:     10
    .sgpr_spill_count: 0
    .symbol:         _Z6kernelI14subtract_rightLj256ELj16ELb0EJPiS1_jEEvDpT3_.kd
    .uniform_work_group_size: 1
    .uses_dynamic_stack: false
    .vgpr_count:     33
    .vgpr_spill_count: 0
    .wavefront_size: 32
    .workgroup_processor_mode: 1
  - .args:
      - .address_space:  global
        .offset:         0
        .size:           8
        .value_kind:     global_buffer
      - .address_space:  global
        .offset:         8
        .size:           8
        .value_kind:     global_buffer
      - .offset:         16
        .size:           4
        .value_kind:     by_value
    .group_segment_fixed_size: 2048
    .kernarg_segment_align: 8
    .kernarg_segment_size: 20
    .language:       OpenCL C
    .language_version:
      - 2
      - 0
    .max_flat_workgroup_size: 256
    .name:           _Z6kernelI14subtract_rightLj256ELj32ELb0EJPiS1_jEEvDpT3_
    .private_segment_fixed_size: 0
    .sgpr_count:     10
    .sgpr_spill_count: 0
    .symbol:         _Z6kernelI14subtract_rightLj256ELj32ELb0EJPiS1_jEEvDpT3_.kd
    .uniform_work_group_size: 1
    .uses_dynamic_stack: false
    .vgpr_count:     65
    .vgpr_spill_count: 0
    .wavefront_size: 32
    .workgroup_processor_mode: 1
  - .args:
      - .address_space:  global
        .offset:         0
        .size:           8
        .value_kind:     global_buffer
      - .address_space:  global
        .offset:         8
        .size:           8
        .value_kind:     global_buffer
      - .offset:         16
        .size:           4
        .value_kind:     by_value
    .group_segment_fixed_size: 2048
    .kernarg_segment_align: 8
    .kernarg_segment_size: 20
    .language:       OpenCL C
    .language_version:
      - 2
      - 0
    .max_flat_workgroup_size: 256
    .name:           _Z6kernelI14subtract_rightLj256ELj1ELb0EJPfS1_jEEvDpT3_
    .private_segment_fixed_size: 0
    .sgpr_count:     10
    .sgpr_spill_count: 0
    .symbol:         _Z6kernelI14subtract_rightLj256ELj1ELb0EJPfS1_jEEvDpT3_.kd
    .uniform_work_group_size: 1
    .uses_dynamic_stack: false
    .vgpr_count:     3
    .vgpr_spill_count: 0
    .wavefront_size: 32
    .workgroup_processor_mode: 1
  - .args:
      - .address_space:  global
        .offset:         0
        .size:           8
        .value_kind:     global_buffer
      - .address_space:  global
        .offset:         8
        .size:           8
        .value_kind:     global_buffer
      - .offset:         16
        .size:           4
        .value_kind:     by_value
    .group_segment_fixed_size: 2048
    .kernarg_segment_align: 8
    .kernarg_segment_size: 20
    .language:       OpenCL C
    .language_version:
      - 2
      - 0
    .max_flat_workgroup_size: 256
    .name:           _Z6kernelI14subtract_rightLj256ELj3ELb0EJPfS1_jEEvDpT3_
    .private_segment_fixed_size: 0
    .sgpr_count:     10
    .sgpr_spill_count: 0
    .symbol:         _Z6kernelI14subtract_rightLj256ELj3ELb0EJPfS1_jEEvDpT3_.kd
    .uniform_work_group_size: 1
    .uses_dynamic_stack: false
    .vgpr_count:     7
    .vgpr_spill_count: 0
    .wavefront_size: 32
    .workgroup_processor_mode: 1
  - .args:
      - .address_space:  global
        .offset:         0
        .size:           8
        .value_kind:     global_buffer
      - .address_space:  global
        .offset:         8
        .size:           8
        .value_kind:     global_buffer
      - .offset:         16
        .size:           4
        .value_kind:     by_value
    .group_segment_fixed_size: 2048
    .kernarg_segment_align: 8
    .kernarg_segment_size: 20
    .language:       OpenCL C
    .language_version:
      - 2
      - 0
    .max_flat_workgroup_size: 256
    .name:           _Z6kernelI14subtract_rightLj256ELj4ELb0EJPfS1_jEEvDpT3_
    .private_segment_fixed_size: 0
    .sgpr_count:     10
    .sgpr_spill_count: 0
    .symbol:         _Z6kernelI14subtract_rightLj256ELj4ELb0EJPfS1_jEEvDpT3_.kd
    .uniform_work_group_size: 1
    .uses_dynamic_stack: false
    .vgpr_count:     9
    .vgpr_spill_count: 0
    .wavefront_size: 32
    .workgroup_processor_mode: 1
  - .args:
      - .address_space:  global
        .offset:         0
        .size:           8
        .value_kind:     global_buffer
      - .address_space:  global
        .offset:         8
        .size:           8
        .value_kind:     global_buffer
      - .offset:         16
        .size:           4
        .value_kind:     by_value
    .group_segment_fixed_size: 2048
    .kernarg_segment_align: 8
    .kernarg_segment_size: 20
    .language:       OpenCL C
    .language_version:
      - 2
      - 0
    .max_flat_workgroup_size: 256
    .name:           _Z6kernelI14subtract_rightLj256ELj8ELb0EJPfS1_jEEvDpT3_
    .private_segment_fixed_size: 0
    .sgpr_count:     10
    .sgpr_spill_count: 0
    .symbol:         _Z6kernelI14subtract_rightLj256ELj8ELb0EJPfS1_jEEvDpT3_.kd
    .uniform_work_group_size: 1
    .uses_dynamic_stack: false
    .vgpr_count:     17
    .vgpr_spill_count: 0
    .wavefront_size: 32
    .workgroup_processor_mode: 1
  - .args:
      - .address_space:  global
        .offset:         0
        .size:           8
        .value_kind:     global_buffer
      - .address_space:  global
        .offset:         8
        .size:           8
        .value_kind:     global_buffer
      - .offset:         16
        .size:           4
        .value_kind:     by_value
    .group_segment_fixed_size: 2048
    .kernarg_segment_align: 8
    .kernarg_segment_size: 20
    .language:       OpenCL C
    .language_version:
      - 2
      - 0
    .max_flat_workgroup_size: 256
    .name:           _Z6kernelI14subtract_rightLj256ELj16ELb0EJPfS1_jEEvDpT3_
    .private_segment_fixed_size: 0
    .sgpr_count:     10
    .sgpr_spill_count: 0
    .symbol:         _Z6kernelI14subtract_rightLj256ELj16ELb0EJPfS1_jEEvDpT3_.kd
    .uniform_work_group_size: 1
    .uses_dynamic_stack: false
    .vgpr_count:     33
    .vgpr_spill_count: 0
    .wavefront_size: 32
    .workgroup_processor_mode: 1
  - .args:
      - .address_space:  global
        .offset:         0
        .size:           8
        .value_kind:     global_buffer
      - .address_space:  global
        .offset:         8
        .size:           8
        .value_kind:     global_buffer
      - .offset:         16
        .size:           4
        .value_kind:     by_value
    .group_segment_fixed_size: 2048
    .kernarg_segment_align: 8
    .kernarg_segment_size: 20
    .language:       OpenCL C
    .language_version:
      - 2
      - 0
    .max_flat_workgroup_size: 256
    .name:           _Z6kernelI14subtract_rightLj256ELj32ELb0EJPfS1_jEEvDpT3_
    .private_segment_fixed_size: 0
    .sgpr_count:     10
    .sgpr_spill_count: 0
    .symbol:         _Z6kernelI14subtract_rightLj256ELj32ELb0EJPfS1_jEEvDpT3_.kd
    .uniform_work_group_size: 1
    .uses_dynamic_stack: false
    .vgpr_count:     65
    .vgpr_spill_count: 0
    .wavefront_size: 32
    .workgroup_processor_mode: 1
  - .args:
      - .address_space:  global
        .offset:         0
        .size:           8
        .value_kind:     global_buffer
      - .address_space:  global
        .offset:         8
        .size:           8
        .value_kind:     global_buffer
      - .offset:         16
        .size:           4
        .value_kind:     by_value
    .group_segment_fixed_size: 512
    .kernarg_segment_align: 8
    .kernarg_segment_size: 20
    .language:       OpenCL C
    .language_version:
      - 2
      - 0
    .max_flat_workgroup_size: 256
    .name:           _Z6kernelI14subtract_rightLj256ELj1ELb0EJPaS1_jEEvDpT3_
    .private_segment_fixed_size: 0
    .sgpr_count:     10
    .sgpr_spill_count: 0
    .symbol:         _Z6kernelI14subtract_rightLj256ELj1ELb0EJPaS1_jEEvDpT3_.kd
    .uniform_work_group_size: 1
    .uses_dynamic_stack: false
    .vgpr_count:     4
    .vgpr_spill_count: 0
    .wavefront_size: 32
    .workgroup_processor_mode: 1
  - .args:
      - .address_space:  global
        .offset:         0
        .size:           8
        .value_kind:     global_buffer
      - .address_space:  global
        .offset:         8
        .size:           8
        .value_kind:     global_buffer
      - .offset:         16
        .size:           4
        .value_kind:     by_value
    .group_segment_fixed_size: 512
    .kernarg_segment_align: 8
    .kernarg_segment_size: 20
    .language:       OpenCL C
    .language_version:
      - 2
      - 0
    .max_flat_workgroup_size: 256
    .name:           _Z6kernelI14subtract_rightLj256ELj3ELb0EJPaS1_jEEvDpT3_
    .private_segment_fixed_size: 0
    .sgpr_count:     10
    .sgpr_spill_count: 0
    .symbol:         _Z6kernelI14subtract_rightLj256ELj3ELb0EJPaS1_jEEvDpT3_.kd
    .uniform_work_group_size: 1
    .uses_dynamic_stack: false
    .vgpr_count:     8
    .vgpr_spill_count: 0
    .wavefront_size: 32
    .workgroup_processor_mode: 1
  - .args:
      - .address_space:  global
        .offset:         0
        .size:           8
        .value_kind:     global_buffer
      - .address_space:  global
        .offset:         8
        .size:           8
        .value_kind:     global_buffer
      - .offset:         16
        .size:           4
        .value_kind:     by_value
    .group_segment_fixed_size: 512
    .kernarg_segment_align: 8
    .kernarg_segment_size: 20
    .language:       OpenCL C
    .language_version:
      - 2
      - 0
    .max_flat_workgroup_size: 256
    .name:           _Z6kernelI14subtract_rightLj256ELj4ELb0EJPaS1_jEEvDpT3_
    .private_segment_fixed_size: 0
    .sgpr_count:     10
    .sgpr_spill_count: 0
    .symbol:         _Z6kernelI14subtract_rightLj256ELj4ELb0EJPaS1_jEEvDpT3_.kd
    .uniform_work_group_size: 1
    .uses_dynamic_stack: false
    .vgpr_count:     10
    .vgpr_spill_count: 0
    .wavefront_size: 32
    .workgroup_processor_mode: 1
  - .args:
      - .address_space:  global
        .offset:         0
        .size:           8
        .value_kind:     global_buffer
      - .address_space:  global
        .offset:         8
        .size:           8
        .value_kind:     global_buffer
      - .offset:         16
        .size:           4
        .value_kind:     by_value
    .group_segment_fixed_size: 512
    .kernarg_segment_align: 8
    .kernarg_segment_size: 20
    .language:       OpenCL C
    .language_version:
      - 2
      - 0
    .max_flat_workgroup_size: 256
    .name:           _Z6kernelI14subtract_rightLj256ELj8ELb0EJPaS1_jEEvDpT3_
    .private_segment_fixed_size: 0
    .sgpr_count:     10
    .sgpr_spill_count: 0
    .symbol:         _Z6kernelI14subtract_rightLj256ELj8ELb0EJPaS1_jEEvDpT3_.kd
    .uniform_work_group_size: 1
    .uses_dynamic_stack: false
    .vgpr_count:     17
    .vgpr_spill_count: 0
    .wavefront_size: 32
    .workgroup_processor_mode: 1
  - .args:
      - .address_space:  global
        .offset:         0
        .size:           8
        .value_kind:     global_buffer
      - .address_space:  global
        .offset:         8
        .size:           8
        .value_kind:     global_buffer
      - .offset:         16
        .size:           4
        .value_kind:     by_value
    .group_segment_fixed_size: 512
    .kernarg_segment_align: 8
    .kernarg_segment_size: 20
    .language:       OpenCL C
    .language_version:
      - 2
      - 0
    .max_flat_workgroup_size: 256
    .name:           _Z6kernelI14subtract_rightLj256ELj16ELb0EJPaS1_jEEvDpT3_
    .private_segment_fixed_size: 0
    .sgpr_count:     10
    .sgpr_spill_count: 0
    .symbol:         _Z6kernelI14subtract_rightLj256ELj16ELb0EJPaS1_jEEvDpT3_.kd
    .uniform_work_group_size: 1
    .uses_dynamic_stack: false
    .vgpr_count:     35
    .vgpr_spill_count: 0
    .wavefront_size: 32
    .workgroup_processor_mode: 1
  - .args:
      - .address_space:  global
        .offset:         0
        .size:           8
        .value_kind:     global_buffer
      - .address_space:  global
        .offset:         8
        .size:           8
        .value_kind:     global_buffer
      - .offset:         16
        .size:           4
        .value_kind:     by_value
    .group_segment_fixed_size: 512
    .kernarg_segment_align: 8
    .kernarg_segment_size: 20
    .language:       OpenCL C
    .language_version:
      - 2
      - 0
    .max_flat_workgroup_size: 256
    .name:           _Z6kernelI14subtract_rightLj256ELj32ELb0EJPaS1_jEEvDpT3_
    .private_segment_fixed_size: 0
    .sgpr_count:     10
    .sgpr_spill_count: 0
    .symbol:         _Z6kernelI14subtract_rightLj256ELj32ELb0EJPaS1_jEEvDpT3_.kd
    .uniform_work_group_size: 1
    .uses_dynamic_stack: false
    .vgpr_count:     38
    .vgpr_spill_count: 0
    .wavefront_size: 32
    .workgroup_processor_mode: 1
  - .args:
      - .address_space:  global
        .offset:         0
        .size:           8
        .value_kind:     global_buffer
      - .address_space:  global
        .offset:         8
        .size:           8
        .value_kind:     global_buffer
      - .offset:         16
        .size:           4
        .value_kind:     by_value
    .group_segment_fixed_size: 4096
    .kernarg_segment_align: 8
    .kernarg_segment_size: 20
    .language:       OpenCL C
    .language_version:
      - 2
      - 0
    .max_flat_workgroup_size: 256
    .name:           _Z6kernelI14subtract_rightLj256ELj1ELb0EJPxS1_jEEvDpT3_
    .private_segment_fixed_size: 0
    .sgpr_count:     10
    .sgpr_spill_count: 0
    .symbol:         _Z6kernelI14subtract_rightLj256ELj1ELb0EJPxS1_jEEvDpT3_.kd
    .uniform_work_group_size: 1
    .uses_dynamic_stack: false
    .vgpr_count:     6
    .vgpr_spill_count: 0
    .wavefront_size: 32
    .workgroup_processor_mode: 1
  - .args:
      - .address_space:  global
        .offset:         0
        .size:           8
        .value_kind:     global_buffer
      - .address_space:  global
        .offset:         8
        .size:           8
        .value_kind:     global_buffer
      - .offset:         16
        .size:           4
        .value_kind:     by_value
    .group_segment_fixed_size: 4096
    .kernarg_segment_align: 8
    .kernarg_segment_size: 20
    .language:       OpenCL C
    .language_version:
      - 2
      - 0
    .max_flat_workgroup_size: 256
    .name:           _Z6kernelI14subtract_rightLj256ELj3ELb0EJPxS1_jEEvDpT3_
    .private_segment_fixed_size: 0
    .sgpr_count:     10
    .sgpr_spill_count: 0
    .symbol:         _Z6kernelI14subtract_rightLj256ELj3ELb0EJPxS1_jEEvDpT3_.kd
    .uniform_work_group_size: 1
    .uses_dynamic_stack: false
    .vgpr_count:     12
    .vgpr_spill_count: 0
    .wavefront_size: 32
    .workgroup_processor_mode: 1
  - .args:
      - .address_space:  global
        .offset:         0
        .size:           8
        .value_kind:     global_buffer
      - .address_space:  global
        .offset:         8
        .size:           8
        .value_kind:     global_buffer
      - .offset:         16
        .size:           4
        .value_kind:     by_value
    .group_segment_fixed_size: 4096
    .kernarg_segment_align: 8
    .kernarg_segment_size: 20
    .language:       OpenCL C
    .language_version:
      - 2
      - 0
    .max_flat_workgroup_size: 256
    .name:           _Z6kernelI14subtract_rightLj256ELj4ELb0EJPxS1_jEEvDpT3_
    .private_segment_fixed_size: 0
    .sgpr_count:     10
    .sgpr_spill_count: 0
    .symbol:         _Z6kernelI14subtract_rightLj256ELj4ELb0EJPxS1_jEEvDpT3_.kd
    .uniform_work_group_size: 1
    .uses_dynamic_stack: false
    .vgpr_count:     16
    .vgpr_spill_count: 0
    .wavefront_size: 32
    .workgroup_processor_mode: 1
  - .args:
      - .address_space:  global
        .offset:         0
        .size:           8
        .value_kind:     global_buffer
      - .address_space:  global
        .offset:         8
        .size:           8
        .value_kind:     global_buffer
      - .offset:         16
        .size:           4
        .value_kind:     by_value
    .group_segment_fixed_size: 4096
    .kernarg_segment_align: 8
    .kernarg_segment_size: 20
    .language:       OpenCL C
    .language_version:
      - 2
      - 0
    .max_flat_workgroup_size: 256
    .name:           _Z6kernelI14subtract_rightLj256ELj8ELb0EJPxS1_jEEvDpT3_
    .private_segment_fixed_size: 0
    .sgpr_count:     10
    .sgpr_spill_count: 0
    .symbol:         _Z6kernelI14subtract_rightLj256ELj8ELb0EJPxS1_jEEvDpT3_.kd
    .uniform_work_group_size: 1
    .uses_dynamic_stack: false
    .vgpr_count:     33
    .vgpr_spill_count: 0
    .wavefront_size: 32
    .workgroup_processor_mode: 1
  - .args:
      - .address_space:  global
        .offset:         0
        .size:           8
        .value_kind:     global_buffer
      - .address_space:  global
        .offset:         8
        .size:           8
        .value_kind:     global_buffer
      - .offset:         16
        .size:           4
        .value_kind:     by_value
    .group_segment_fixed_size: 4096
    .kernarg_segment_align: 8
    .kernarg_segment_size: 20
    .language:       OpenCL C
    .language_version:
      - 2
      - 0
    .max_flat_workgroup_size: 256
    .name:           _Z6kernelI14subtract_rightLj256ELj16ELb0EJPxS1_jEEvDpT3_
    .private_segment_fixed_size: 0
    .sgpr_count:     10
    .sgpr_spill_count: 0
    .symbol:         _Z6kernelI14subtract_rightLj256ELj16ELb0EJPxS1_jEEvDpT3_.kd
    .uniform_work_group_size: 1
    .uses_dynamic_stack: false
    .vgpr_count:     65
    .vgpr_spill_count: 0
    .wavefront_size: 32
    .workgroup_processor_mode: 1
  - .args:
      - .address_space:  global
        .offset:         0
        .size:           8
        .value_kind:     global_buffer
      - .address_space:  global
        .offset:         8
        .size:           8
        .value_kind:     global_buffer
      - .offset:         16
        .size:           4
        .value_kind:     by_value
    .group_segment_fixed_size: 4096
    .kernarg_segment_align: 8
    .kernarg_segment_size: 20
    .language:       OpenCL C
    .language_version:
      - 2
      - 0
    .max_flat_workgroup_size: 256
    .name:           _Z6kernelI14subtract_rightLj256ELj32ELb0EJPxS1_jEEvDpT3_
    .private_segment_fixed_size: 0
    .sgpr_count:     10
    .sgpr_spill_count: 0
    .symbol:         _Z6kernelI14subtract_rightLj256ELj32ELb0EJPxS1_jEEvDpT3_.kd
    .uniform_work_group_size: 1
    .uses_dynamic_stack: false
    .vgpr_count:     93
    .vgpr_spill_count: 0
    .wavefront_size: 32
    .workgroup_processor_mode: 1
  - .args:
      - .address_space:  global
        .offset:         0
        .size:           8
        .value_kind:     global_buffer
      - .address_space:  global
        .offset:         8
        .size:           8
        .value_kind:     global_buffer
      - .offset:         16
        .size:           4
        .value_kind:     by_value
    .group_segment_fixed_size: 4096
    .kernarg_segment_align: 8
    .kernarg_segment_size: 20
    .language:       OpenCL C
    .language_version:
      - 2
      - 0
    .max_flat_workgroup_size: 256
    .name:           _Z6kernelI14subtract_rightLj256ELj1ELb0EJPdS1_jEEvDpT3_
    .private_segment_fixed_size: 0
    .sgpr_count:     10
    .sgpr_spill_count: 0
    .symbol:         _Z6kernelI14subtract_rightLj256ELj1ELb0EJPdS1_jEEvDpT3_.kd
    .uniform_work_group_size: 1
    .uses_dynamic_stack: false
    .vgpr_count:     6
    .vgpr_spill_count: 0
    .wavefront_size: 32
    .workgroup_processor_mode: 1
  - .args:
      - .address_space:  global
        .offset:         0
        .size:           8
        .value_kind:     global_buffer
      - .address_space:  global
        .offset:         8
        .size:           8
        .value_kind:     global_buffer
      - .offset:         16
        .size:           4
        .value_kind:     by_value
    .group_segment_fixed_size: 4096
    .kernarg_segment_align: 8
    .kernarg_segment_size: 20
    .language:       OpenCL C
    .language_version:
      - 2
      - 0
    .max_flat_workgroup_size: 256
    .name:           _Z6kernelI14subtract_rightLj256ELj3ELb0EJPdS1_jEEvDpT3_
    .private_segment_fixed_size: 0
    .sgpr_count:     10
    .sgpr_spill_count: 0
    .symbol:         _Z6kernelI14subtract_rightLj256ELj3ELb0EJPdS1_jEEvDpT3_.kd
    .uniform_work_group_size: 1
    .uses_dynamic_stack: false
    .vgpr_count:     14
    .vgpr_spill_count: 0
    .wavefront_size: 32
    .workgroup_processor_mode: 1
  - .args:
      - .address_space:  global
        .offset:         0
        .size:           8
        .value_kind:     global_buffer
      - .address_space:  global
        .offset:         8
        .size:           8
        .value_kind:     global_buffer
      - .offset:         16
        .size:           4
        .value_kind:     by_value
    .group_segment_fixed_size: 4096
    .kernarg_segment_align: 8
    .kernarg_segment_size: 20
    .language:       OpenCL C
    .language_version:
      - 2
      - 0
    .max_flat_workgroup_size: 256
    .name:           _Z6kernelI14subtract_rightLj256ELj4ELb0EJPdS1_jEEvDpT3_
    .private_segment_fixed_size: 0
    .sgpr_count:     10
    .sgpr_spill_count: 0
    .symbol:         _Z6kernelI14subtract_rightLj256ELj4ELb0EJPdS1_jEEvDpT3_.kd
    .uniform_work_group_size: 1
    .uses_dynamic_stack: false
    .vgpr_count:     18
    .vgpr_spill_count: 0
    .wavefront_size: 32
    .workgroup_processor_mode: 1
  - .args:
      - .address_space:  global
        .offset:         0
        .size:           8
        .value_kind:     global_buffer
      - .address_space:  global
        .offset:         8
        .size:           8
        .value_kind:     global_buffer
      - .offset:         16
        .size:           4
        .value_kind:     by_value
    .group_segment_fixed_size: 4096
    .kernarg_segment_align: 8
    .kernarg_segment_size: 20
    .language:       OpenCL C
    .language_version:
      - 2
      - 0
    .max_flat_workgroup_size: 256
    .name:           _Z6kernelI14subtract_rightLj256ELj8ELb0EJPdS1_jEEvDpT3_
    .private_segment_fixed_size: 0
    .sgpr_count:     10
    .sgpr_spill_count: 0
    .symbol:         _Z6kernelI14subtract_rightLj256ELj8ELb0EJPdS1_jEEvDpT3_.kd
    .uniform_work_group_size: 1
    .uses_dynamic_stack: false
    .vgpr_count:     34
    .vgpr_spill_count: 0
    .wavefront_size: 32
    .workgroup_processor_mode: 1
  - .args:
      - .address_space:  global
        .offset:         0
        .size:           8
        .value_kind:     global_buffer
      - .address_space:  global
        .offset:         8
        .size:           8
        .value_kind:     global_buffer
      - .offset:         16
        .size:           4
        .value_kind:     by_value
    .group_segment_fixed_size: 4096
    .kernarg_segment_align: 8
    .kernarg_segment_size: 20
    .language:       OpenCL C
    .language_version:
      - 2
      - 0
    .max_flat_workgroup_size: 256
    .name:           _Z6kernelI14subtract_rightLj256ELj16ELb0EJPdS1_jEEvDpT3_
    .private_segment_fixed_size: 0
    .sgpr_count:     10
    .sgpr_spill_count: 0
    .symbol:         _Z6kernelI14subtract_rightLj256ELj16ELb0EJPdS1_jEEvDpT3_.kd
    .uniform_work_group_size: 1
    .uses_dynamic_stack: false
    .vgpr_count:     66
    .vgpr_spill_count: 0
    .wavefront_size: 32
    .workgroup_processor_mode: 1
  - .args:
      - .address_space:  global
        .offset:         0
        .size:           8
        .value_kind:     global_buffer
      - .address_space:  global
        .offset:         8
        .size:           8
        .value_kind:     global_buffer
      - .offset:         16
        .size:           4
        .value_kind:     by_value
    .group_segment_fixed_size: 4096
    .kernarg_segment_align: 8
    .kernarg_segment_size: 20
    .language:       OpenCL C
    .language_version:
      - 2
      - 0
    .max_flat_workgroup_size: 256
    .name:           _Z6kernelI14subtract_rightLj256ELj32ELb0EJPdS1_jEEvDpT3_
    .private_segment_fixed_size: 0
    .sgpr_count:     10
    .sgpr_spill_count: 0
    .symbol:         _Z6kernelI14subtract_rightLj256ELj32ELb0EJPdS1_jEEvDpT3_.kd
    .uniform_work_group_size: 1
    .uses_dynamic_stack: false
    .vgpr_count:     94
    .vgpr_spill_count: 0
    .wavefront_size: 32
    .workgroup_processor_mode: 1
  - .args:
      - .address_space:  global
        .offset:         0
        .size:           8
        .value_kind:     global_buffer
      - .address_space:  global
        .offset:         8
        .size:           8
        .value_kind:     global_buffer
      - .offset:         16
        .size:           4
        .value_kind:     by_value
    .group_segment_fixed_size: 2048
    .kernarg_segment_align: 8
    .kernarg_segment_size: 20
    .language:       OpenCL C
    .language_version:
      - 2
      - 0
    .max_flat_workgroup_size: 256
    .name:           _Z6kernelI14subtract_rightLj256ELj1ELb1EJPiS1_jEEvDpT3_
    .private_segment_fixed_size: 0
    .sgpr_count:     10
    .sgpr_spill_count: 0
    .symbol:         _Z6kernelI14subtract_rightLj256ELj1ELb1EJPiS1_jEEvDpT3_.kd
    .uniform_work_group_size: 1
    .uses_dynamic_stack: false
    .vgpr_count:     3
    .vgpr_spill_count: 0
    .wavefront_size: 32
    .workgroup_processor_mode: 1
  - .args:
      - .address_space:  global
        .offset:         0
        .size:           8
        .value_kind:     global_buffer
      - .address_space:  global
        .offset:         8
        .size:           8
        .value_kind:     global_buffer
      - .offset:         16
        .size:           4
        .value_kind:     by_value
    .group_segment_fixed_size: 2048
    .kernarg_segment_align: 8
    .kernarg_segment_size: 20
    .language:       OpenCL C
    .language_version:
      - 2
      - 0
    .max_flat_workgroup_size: 256
    .name:           _Z6kernelI14subtract_rightLj256ELj3ELb1EJPiS1_jEEvDpT3_
    .private_segment_fixed_size: 0
    .sgpr_count:     10
    .sgpr_spill_count: 0
    .symbol:         _Z6kernelI14subtract_rightLj256ELj3ELb1EJPiS1_jEEvDpT3_.kd
    .uniform_work_group_size: 1
    .uses_dynamic_stack: false
    .vgpr_count:     7
    .vgpr_spill_count: 0
    .wavefront_size: 32
    .workgroup_processor_mode: 1
  - .args:
      - .address_space:  global
        .offset:         0
        .size:           8
        .value_kind:     global_buffer
      - .address_space:  global
        .offset:         8
        .size:           8
        .value_kind:     global_buffer
      - .offset:         16
        .size:           4
        .value_kind:     by_value
    .group_segment_fixed_size: 2048
    .kernarg_segment_align: 8
    .kernarg_segment_size: 20
    .language:       OpenCL C
    .language_version:
      - 2
      - 0
    .max_flat_workgroup_size: 256
    .name:           _Z6kernelI14subtract_rightLj256ELj4ELb1EJPiS1_jEEvDpT3_
    .private_segment_fixed_size: 0
    .sgpr_count:     10
    .sgpr_spill_count: 0
    .symbol:         _Z6kernelI14subtract_rightLj256ELj4ELb1EJPiS1_jEEvDpT3_.kd
    .uniform_work_group_size: 1
    .uses_dynamic_stack: false
    .vgpr_count:     9
    .vgpr_spill_count: 0
    .wavefront_size: 32
    .workgroup_processor_mode: 1
  - .args:
      - .address_space:  global
        .offset:         0
        .size:           8
        .value_kind:     global_buffer
      - .address_space:  global
        .offset:         8
        .size:           8
        .value_kind:     global_buffer
      - .offset:         16
        .size:           4
        .value_kind:     by_value
    .group_segment_fixed_size: 2048
    .kernarg_segment_align: 8
    .kernarg_segment_size: 20
    .language:       OpenCL C
    .language_version:
      - 2
      - 0
    .max_flat_workgroup_size: 256
    .name:           _Z6kernelI14subtract_rightLj256ELj8ELb1EJPiS1_jEEvDpT3_
    .private_segment_fixed_size: 0
    .sgpr_count:     10
    .sgpr_spill_count: 0
    .symbol:         _Z6kernelI14subtract_rightLj256ELj8ELb1EJPiS1_jEEvDpT3_.kd
    .uniform_work_group_size: 1
    .uses_dynamic_stack: false
    .vgpr_count:     14
    .vgpr_spill_count: 0
    .wavefront_size: 32
    .workgroup_processor_mode: 1
  - .args:
      - .address_space:  global
        .offset:         0
        .size:           8
        .value_kind:     global_buffer
      - .address_space:  global
        .offset:         8
        .size:           8
        .value_kind:     global_buffer
      - .offset:         16
        .size:           4
        .value_kind:     by_value
    .group_segment_fixed_size: 2048
    .kernarg_segment_align: 8
    .kernarg_segment_size: 20
    .language:       OpenCL C
    .language_version:
      - 2
      - 0
    .max_flat_workgroup_size: 256
    .name:           _Z6kernelI14subtract_rightLj256ELj16ELb1EJPiS1_jEEvDpT3_
    .private_segment_fixed_size: 0
    .sgpr_count:     10
    .sgpr_spill_count: 0
    .symbol:         _Z6kernelI14subtract_rightLj256ELj16ELb1EJPiS1_jEEvDpT3_.kd
    .uniform_work_group_size: 1
    .uses_dynamic_stack: false
    .vgpr_count:     33
    .vgpr_spill_count: 0
    .wavefront_size: 32
    .workgroup_processor_mode: 1
  - .args:
      - .address_space:  global
        .offset:         0
        .size:           8
        .value_kind:     global_buffer
      - .address_space:  global
        .offset:         8
        .size:           8
        .value_kind:     global_buffer
      - .offset:         16
        .size:           4
        .value_kind:     by_value
    .group_segment_fixed_size: 2048
    .kernarg_segment_align: 8
    .kernarg_segment_size: 20
    .language:       OpenCL C
    .language_version:
      - 2
      - 0
    .max_flat_workgroup_size: 256
    .name:           _Z6kernelI14subtract_rightLj256ELj32ELb1EJPiS1_jEEvDpT3_
    .private_segment_fixed_size: 0
    .sgpr_count:     10
    .sgpr_spill_count: 0
    .symbol:         _Z6kernelI14subtract_rightLj256ELj32ELb1EJPiS1_jEEvDpT3_.kd
    .uniform_work_group_size: 1
    .uses_dynamic_stack: false
    .vgpr_count:     65
    .vgpr_spill_count: 0
    .wavefront_size: 32
    .workgroup_processor_mode: 1
  - .args:
      - .address_space:  global
        .offset:         0
        .size:           8
        .value_kind:     global_buffer
      - .address_space:  global
        .offset:         8
        .size:           8
        .value_kind:     global_buffer
      - .offset:         16
        .size:           4
        .value_kind:     by_value
    .group_segment_fixed_size: 2048
    .kernarg_segment_align: 8
    .kernarg_segment_size: 20
    .language:       OpenCL C
    .language_version:
      - 2
      - 0
    .max_flat_workgroup_size: 256
    .name:           _Z6kernelI14subtract_rightLj256ELj1ELb1EJPfS1_jEEvDpT3_
    .private_segment_fixed_size: 0
    .sgpr_count:     10
    .sgpr_spill_count: 0
    .symbol:         _Z6kernelI14subtract_rightLj256ELj1ELb1EJPfS1_jEEvDpT3_.kd
    .uniform_work_group_size: 1
    .uses_dynamic_stack: false
    .vgpr_count:     3
    .vgpr_spill_count: 0
    .wavefront_size: 32
    .workgroup_processor_mode: 1
  - .args:
      - .address_space:  global
        .offset:         0
        .size:           8
        .value_kind:     global_buffer
      - .address_space:  global
        .offset:         8
        .size:           8
        .value_kind:     global_buffer
      - .offset:         16
        .size:           4
        .value_kind:     by_value
    .group_segment_fixed_size: 2048
    .kernarg_segment_align: 8
    .kernarg_segment_size: 20
    .language:       OpenCL C
    .language_version:
      - 2
      - 0
    .max_flat_workgroup_size: 256
    .name:           _Z6kernelI14subtract_rightLj256ELj3ELb1EJPfS1_jEEvDpT3_
    .private_segment_fixed_size: 0
    .sgpr_count:     10
    .sgpr_spill_count: 0
    .symbol:         _Z6kernelI14subtract_rightLj256ELj3ELb1EJPfS1_jEEvDpT3_.kd
    .uniform_work_group_size: 1
    .uses_dynamic_stack: false
    .vgpr_count:     7
    .vgpr_spill_count: 0
    .wavefront_size: 32
    .workgroup_processor_mode: 1
  - .args:
      - .address_space:  global
        .offset:         0
        .size:           8
        .value_kind:     global_buffer
      - .address_space:  global
        .offset:         8
        .size:           8
        .value_kind:     global_buffer
      - .offset:         16
        .size:           4
        .value_kind:     by_value
    .group_segment_fixed_size: 2048
    .kernarg_segment_align: 8
    .kernarg_segment_size: 20
    .language:       OpenCL C
    .language_version:
      - 2
      - 0
    .max_flat_workgroup_size: 256
    .name:           _Z6kernelI14subtract_rightLj256ELj4ELb1EJPfS1_jEEvDpT3_
    .private_segment_fixed_size: 0
    .sgpr_count:     10
    .sgpr_spill_count: 0
    .symbol:         _Z6kernelI14subtract_rightLj256ELj4ELb1EJPfS1_jEEvDpT3_.kd
    .uniform_work_group_size: 1
    .uses_dynamic_stack: false
    .vgpr_count:     9
    .vgpr_spill_count: 0
    .wavefront_size: 32
    .workgroup_processor_mode: 1
  - .args:
      - .address_space:  global
        .offset:         0
        .size:           8
        .value_kind:     global_buffer
      - .address_space:  global
        .offset:         8
        .size:           8
        .value_kind:     global_buffer
      - .offset:         16
        .size:           4
        .value_kind:     by_value
    .group_segment_fixed_size: 2048
    .kernarg_segment_align: 8
    .kernarg_segment_size: 20
    .language:       OpenCL C
    .language_version:
      - 2
      - 0
    .max_flat_workgroup_size: 256
    .name:           _Z6kernelI14subtract_rightLj256ELj8ELb1EJPfS1_jEEvDpT3_
    .private_segment_fixed_size: 0
    .sgpr_count:     10
    .sgpr_spill_count: 0
    .symbol:         _Z6kernelI14subtract_rightLj256ELj8ELb1EJPfS1_jEEvDpT3_.kd
    .uniform_work_group_size: 1
    .uses_dynamic_stack: false
    .vgpr_count:     17
    .vgpr_spill_count: 0
    .wavefront_size: 32
    .workgroup_processor_mode: 1
  - .args:
      - .address_space:  global
        .offset:         0
        .size:           8
        .value_kind:     global_buffer
      - .address_space:  global
        .offset:         8
        .size:           8
        .value_kind:     global_buffer
      - .offset:         16
        .size:           4
        .value_kind:     by_value
    .group_segment_fixed_size: 2048
    .kernarg_segment_align: 8
    .kernarg_segment_size: 20
    .language:       OpenCL C
    .language_version:
      - 2
      - 0
    .max_flat_workgroup_size: 256
    .name:           _Z6kernelI14subtract_rightLj256ELj16ELb1EJPfS1_jEEvDpT3_
    .private_segment_fixed_size: 0
    .sgpr_count:     10
    .sgpr_spill_count: 0
    .symbol:         _Z6kernelI14subtract_rightLj256ELj16ELb1EJPfS1_jEEvDpT3_.kd
    .uniform_work_group_size: 1
    .uses_dynamic_stack: false
    .vgpr_count:     33
    .vgpr_spill_count: 0
    .wavefront_size: 32
    .workgroup_processor_mode: 1
  - .args:
      - .address_space:  global
        .offset:         0
        .size:           8
        .value_kind:     global_buffer
      - .address_space:  global
        .offset:         8
        .size:           8
        .value_kind:     global_buffer
      - .offset:         16
        .size:           4
        .value_kind:     by_value
    .group_segment_fixed_size: 2048
    .kernarg_segment_align: 8
    .kernarg_segment_size: 20
    .language:       OpenCL C
    .language_version:
      - 2
      - 0
    .max_flat_workgroup_size: 256
    .name:           _Z6kernelI14subtract_rightLj256ELj32ELb1EJPfS1_jEEvDpT3_
    .private_segment_fixed_size: 0
    .sgpr_count:     10
    .sgpr_spill_count: 0
    .symbol:         _Z6kernelI14subtract_rightLj256ELj32ELb1EJPfS1_jEEvDpT3_.kd
    .uniform_work_group_size: 1
    .uses_dynamic_stack: false
    .vgpr_count:     65
    .vgpr_spill_count: 0
    .wavefront_size: 32
    .workgroup_processor_mode: 1
  - .args:
      - .address_space:  global
        .offset:         0
        .size:           8
        .value_kind:     global_buffer
      - .address_space:  global
        .offset:         8
        .size:           8
        .value_kind:     global_buffer
      - .offset:         16
        .size:           4
        .value_kind:     by_value
    .group_segment_fixed_size: 512
    .kernarg_segment_align: 8
    .kernarg_segment_size: 20
    .language:       OpenCL C
    .language_version:
      - 2
      - 0
    .max_flat_workgroup_size: 256
    .name:           _Z6kernelI14subtract_rightLj256ELj1ELb1EJPaS1_jEEvDpT3_
    .private_segment_fixed_size: 0
    .sgpr_count:     10
    .sgpr_spill_count: 0
    .symbol:         _Z6kernelI14subtract_rightLj256ELj1ELb1EJPaS1_jEEvDpT3_.kd
    .uniform_work_group_size: 1
    .uses_dynamic_stack: false
    .vgpr_count:     4
    .vgpr_spill_count: 0
    .wavefront_size: 32
    .workgroup_processor_mode: 1
  - .args:
      - .address_space:  global
        .offset:         0
        .size:           8
        .value_kind:     global_buffer
      - .address_space:  global
        .offset:         8
        .size:           8
        .value_kind:     global_buffer
      - .offset:         16
        .size:           4
        .value_kind:     by_value
    .group_segment_fixed_size: 512
    .kernarg_segment_align: 8
    .kernarg_segment_size: 20
    .language:       OpenCL C
    .language_version:
      - 2
      - 0
    .max_flat_workgroup_size: 256
    .name:           _Z6kernelI14subtract_rightLj256ELj3ELb1EJPaS1_jEEvDpT3_
    .private_segment_fixed_size: 0
    .sgpr_count:     10
    .sgpr_spill_count: 0
    .symbol:         _Z6kernelI14subtract_rightLj256ELj3ELb1EJPaS1_jEEvDpT3_.kd
    .uniform_work_group_size: 1
    .uses_dynamic_stack: false
    .vgpr_count:     7
    .vgpr_spill_count: 0
    .wavefront_size: 32
    .workgroup_processor_mode: 1
  - .args:
      - .address_space:  global
        .offset:         0
        .size:           8
        .value_kind:     global_buffer
      - .address_space:  global
        .offset:         8
        .size:           8
        .value_kind:     global_buffer
      - .offset:         16
        .size:           4
        .value_kind:     by_value
    .group_segment_fixed_size: 512
    .kernarg_segment_align: 8
    .kernarg_segment_size: 20
    .language:       OpenCL C
    .language_version:
      - 2
      - 0
    .max_flat_workgroup_size: 256
    .name:           _Z6kernelI14subtract_rightLj256ELj4ELb1EJPaS1_jEEvDpT3_
    .private_segment_fixed_size: 0
    .sgpr_count:     10
    .sgpr_spill_count: 0
    .symbol:         _Z6kernelI14subtract_rightLj256ELj4ELb1EJPaS1_jEEvDpT3_.kd
    .uniform_work_group_size: 1
    .uses_dynamic_stack: false
    .vgpr_count:     9
    .vgpr_spill_count: 0
    .wavefront_size: 32
    .workgroup_processor_mode: 1
  - .args:
      - .address_space:  global
        .offset:         0
        .size:           8
        .value_kind:     global_buffer
      - .address_space:  global
        .offset:         8
        .size:           8
        .value_kind:     global_buffer
      - .offset:         16
        .size:           4
        .value_kind:     by_value
    .group_segment_fixed_size: 512
    .kernarg_segment_align: 8
    .kernarg_segment_size: 20
    .language:       OpenCL C
    .language_version:
      - 2
      - 0
    .max_flat_workgroup_size: 256
    .name:           _Z6kernelI14subtract_rightLj256ELj8ELb1EJPaS1_jEEvDpT3_
    .private_segment_fixed_size: 0
    .sgpr_count:     10
    .sgpr_spill_count: 0
    .symbol:         _Z6kernelI14subtract_rightLj256ELj8ELb1EJPaS1_jEEvDpT3_.kd
    .uniform_work_group_size: 1
    .uses_dynamic_stack: false
    .vgpr_count:     14
    .vgpr_spill_count: 0
    .wavefront_size: 32
    .workgroup_processor_mode: 1
  - .args:
      - .address_space:  global
        .offset:         0
        .size:           8
        .value_kind:     global_buffer
      - .address_space:  global
        .offset:         8
        .size:           8
        .value_kind:     global_buffer
      - .offset:         16
        .size:           4
        .value_kind:     by_value
    .group_segment_fixed_size: 512
    .kernarg_segment_align: 8
    .kernarg_segment_size: 20
    .language:       OpenCL C
    .language_version:
      - 2
      - 0
    .max_flat_workgroup_size: 256
    .name:           _Z6kernelI14subtract_rightLj256ELj16ELb1EJPaS1_jEEvDpT3_
    .private_segment_fixed_size: 0
    .sgpr_count:     10
    .sgpr_spill_count: 0
    .symbol:         _Z6kernelI14subtract_rightLj256ELj16ELb1EJPaS1_jEEvDpT3_.kd
    .uniform_work_group_size: 1
    .uses_dynamic_stack: false
    .vgpr_count:     20
    .vgpr_spill_count: 0
    .wavefront_size: 32
    .workgroup_processor_mode: 1
  - .args:
      - .address_space:  global
        .offset:         0
        .size:           8
        .value_kind:     global_buffer
      - .address_space:  global
        .offset:         8
        .size:           8
        .value_kind:     global_buffer
      - .offset:         16
        .size:           4
        .value_kind:     by_value
    .group_segment_fixed_size: 512
    .kernarg_segment_align: 8
    .kernarg_segment_size: 20
    .language:       OpenCL C
    .language_version:
      - 2
      - 0
    .max_flat_workgroup_size: 256
    .name:           _Z6kernelI14subtract_rightLj256ELj32ELb1EJPaS1_jEEvDpT3_
    .private_segment_fixed_size: 0
    .sgpr_count:     10
    .sgpr_spill_count: 0
    .symbol:         _Z6kernelI14subtract_rightLj256ELj32ELb1EJPaS1_jEEvDpT3_.kd
    .uniform_work_group_size: 1
    .uses_dynamic_stack: false
    .vgpr_count:     33
    .vgpr_spill_count: 0
    .wavefront_size: 32
    .workgroup_processor_mode: 1
  - .args:
      - .address_space:  global
        .offset:         0
        .size:           8
        .value_kind:     global_buffer
      - .address_space:  global
        .offset:         8
        .size:           8
        .value_kind:     global_buffer
      - .offset:         16
        .size:           4
        .value_kind:     by_value
    .group_segment_fixed_size: 4096
    .kernarg_segment_align: 8
    .kernarg_segment_size: 20
    .language:       OpenCL C
    .language_version:
      - 2
      - 0
    .max_flat_workgroup_size: 256
    .name:           _Z6kernelI14subtract_rightLj256ELj1ELb1EJPxS1_jEEvDpT3_
    .private_segment_fixed_size: 0
    .sgpr_count:     10
    .sgpr_spill_count: 0
    .symbol:         _Z6kernelI14subtract_rightLj256ELj1ELb1EJPxS1_jEEvDpT3_.kd
    .uniform_work_group_size: 1
    .uses_dynamic_stack: false
    .vgpr_count:     6
    .vgpr_spill_count: 0
    .wavefront_size: 32
    .workgroup_processor_mode: 1
  - .args:
      - .address_space:  global
        .offset:         0
        .size:           8
        .value_kind:     global_buffer
      - .address_space:  global
        .offset:         8
        .size:           8
        .value_kind:     global_buffer
      - .offset:         16
        .size:           4
        .value_kind:     by_value
    .group_segment_fixed_size: 4096
    .kernarg_segment_align: 8
    .kernarg_segment_size: 20
    .language:       OpenCL C
    .language_version:
      - 2
      - 0
    .max_flat_workgroup_size: 256
    .name:           _Z6kernelI14subtract_rightLj256ELj3ELb1EJPxS1_jEEvDpT3_
    .private_segment_fixed_size: 0
    .sgpr_count:     10
    .sgpr_spill_count: 0
    .symbol:         _Z6kernelI14subtract_rightLj256ELj3ELb1EJPxS1_jEEvDpT3_.kd
    .uniform_work_group_size: 1
    .uses_dynamic_stack: false
    .vgpr_count:     14
    .vgpr_spill_count: 0
    .wavefront_size: 32
    .workgroup_processor_mode: 1
  - .args:
      - .address_space:  global
        .offset:         0
        .size:           8
        .value_kind:     global_buffer
      - .address_space:  global
        .offset:         8
        .size:           8
        .value_kind:     global_buffer
      - .offset:         16
        .size:           4
        .value_kind:     by_value
    .group_segment_fixed_size: 4096
    .kernarg_segment_align: 8
    .kernarg_segment_size: 20
    .language:       OpenCL C
    .language_version:
      - 2
      - 0
    .max_flat_workgroup_size: 256
    .name:           _Z6kernelI14subtract_rightLj256ELj4ELb1EJPxS1_jEEvDpT3_
    .private_segment_fixed_size: 0
    .sgpr_count:     10
    .sgpr_spill_count: 0
    .symbol:         _Z6kernelI14subtract_rightLj256ELj4ELb1EJPxS1_jEEvDpT3_.kd
    .uniform_work_group_size: 1
    .uses_dynamic_stack: false
    .vgpr_count:     16
    .vgpr_spill_count: 0
    .wavefront_size: 32
    .workgroup_processor_mode: 1
  - .args:
      - .address_space:  global
        .offset:         0
        .size:           8
        .value_kind:     global_buffer
      - .address_space:  global
        .offset:         8
        .size:           8
        .value_kind:     global_buffer
      - .offset:         16
        .size:           4
        .value_kind:     by_value
    .group_segment_fixed_size: 4096
    .kernarg_segment_align: 8
    .kernarg_segment_size: 20
    .language:       OpenCL C
    .language_version:
      - 2
      - 0
    .max_flat_workgroup_size: 256
    .name:           _Z6kernelI14subtract_rightLj256ELj8ELb1EJPxS1_jEEvDpT3_
    .private_segment_fixed_size: 0
    .sgpr_count:     10
    .sgpr_spill_count: 0
    .symbol:         _Z6kernelI14subtract_rightLj256ELj8ELb1EJPxS1_jEEvDpT3_.kd
    .uniform_work_group_size: 1
    .uses_dynamic_stack: false
    .vgpr_count:     33
    .vgpr_spill_count: 0
    .wavefront_size: 32
    .workgroup_processor_mode: 1
  - .args:
      - .address_space:  global
        .offset:         0
        .size:           8
        .value_kind:     global_buffer
      - .address_space:  global
        .offset:         8
        .size:           8
        .value_kind:     global_buffer
      - .offset:         16
        .size:           4
        .value_kind:     by_value
    .group_segment_fixed_size: 4096
    .kernarg_segment_align: 8
    .kernarg_segment_size: 20
    .language:       OpenCL C
    .language_version:
      - 2
      - 0
    .max_flat_workgroup_size: 256
    .name:           _Z6kernelI14subtract_rightLj256ELj16ELb1EJPxS1_jEEvDpT3_
    .private_segment_fixed_size: 0
    .sgpr_count:     10
    .sgpr_spill_count: 0
    .symbol:         _Z6kernelI14subtract_rightLj256ELj16ELb1EJPxS1_jEEvDpT3_.kd
    .uniform_work_group_size: 1
    .uses_dynamic_stack: false
    .vgpr_count:     65
    .vgpr_spill_count: 0
    .wavefront_size: 32
    .workgroup_processor_mode: 1
  - .args:
      - .address_space:  global
        .offset:         0
        .size:           8
        .value_kind:     global_buffer
      - .address_space:  global
        .offset:         8
        .size:           8
        .value_kind:     global_buffer
      - .offset:         16
        .size:           4
        .value_kind:     by_value
    .group_segment_fixed_size: 4096
    .kernarg_segment_align: 8
    .kernarg_segment_size: 20
    .language:       OpenCL C
    .language_version:
      - 2
      - 0
    .max_flat_workgroup_size: 256
    .name:           _Z6kernelI14subtract_rightLj256ELj32ELb1EJPxS1_jEEvDpT3_
    .private_segment_fixed_size: 0
    .sgpr_count:     10
    .sgpr_spill_count: 0
    .symbol:         _Z6kernelI14subtract_rightLj256ELj32ELb1EJPxS1_jEEvDpT3_.kd
    .uniform_work_group_size: 1
    .uses_dynamic_stack: false
    .vgpr_count:     93
    .vgpr_spill_count: 0
    .wavefront_size: 32
    .workgroup_processor_mode: 1
  - .args:
      - .address_space:  global
        .offset:         0
        .size:           8
        .value_kind:     global_buffer
      - .address_space:  global
        .offset:         8
        .size:           8
        .value_kind:     global_buffer
      - .offset:         16
        .size:           4
        .value_kind:     by_value
    .group_segment_fixed_size: 4096
    .kernarg_segment_align: 8
    .kernarg_segment_size: 20
    .language:       OpenCL C
    .language_version:
      - 2
      - 0
    .max_flat_workgroup_size: 256
    .name:           _Z6kernelI14subtract_rightLj256ELj1ELb1EJPdS1_jEEvDpT3_
    .private_segment_fixed_size: 0
    .sgpr_count:     10
    .sgpr_spill_count: 0
    .symbol:         _Z6kernelI14subtract_rightLj256ELj1ELb1EJPdS1_jEEvDpT3_.kd
    .uniform_work_group_size: 1
    .uses_dynamic_stack: false
    .vgpr_count:     6
    .vgpr_spill_count: 0
    .wavefront_size: 32
    .workgroup_processor_mode: 1
  - .args:
      - .address_space:  global
        .offset:         0
        .size:           8
        .value_kind:     global_buffer
      - .address_space:  global
        .offset:         8
        .size:           8
        .value_kind:     global_buffer
      - .offset:         16
        .size:           4
        .value_kind:     by_value
    .group_segment_fixed_size: 4096
    .kernarg_segment_align: 8
    .kernarg_segment_size: 20
    .language:       OpenCL C
    .language_version:
      - 2
      - 0
    .max_flat_workgroup_size: 256
    .name:           _Z6kernelI14subtract_rightLj256ELj3ELb1EJPdS1_jEEvDpT3_
    .private_segment_fixed_size: 0
    .sgpr_count:     10
    .sgpr_spill_count: 0
    .symbol:         _Z6kernelI14subtract_rightLj256ELj3ELb1EJPdS1_jEEvDpT3_.kd
    .uniform_work_group_size: 1
    .uses_dynamic_stack: false
    .vgpr_count:     14
    .vgpr_spill_count: 0
    .wavefront_size: 32
    .workgroup_processor_mode: 1
  - .args:
      - .address_space:  global
        .offset:         0
        .size:           8
        .value_kind:     global_buffer
      - .address_space:  global
        .offset:         8
        .size:           8
        .value_kind:     global_buffer
      - .offset:         16
        .size:           4
        .value_kind:     by_value
    .group_segment_fixed_size: 4096
    .kernarg_segment_align: 8
    .kernarg_segment_size: 20
    .language:       OpenCL C
    .language_version:
      - 2
      - 0
    .max_flat_workgroup_size: 256
    .name:           _Z6kernelI14subtract_rightLj256ELj4ELb1EJPdS1_jEEvDpT3_
    .private_segment_fixed_size: 0
    .sgpr_count:     10
    .sgpr_spill_count: 0
    .symbol:         _Z6kernelI14subtract_rightLj256ELj4ELb1EJPdS1_jEEvDpT3_.kd
    .uniform_work_group_size: 1
    .uses_dynamic_stack: false
    .vgpr_count:     18
    .vgpr_spill_count: 0
    .wavefront_size: 32
    .workgroup_processor_mode: 1
  - .args:
      - .address_space:  global
        .offset:         0
        .size:           8
        .value_kind:     global_buffer
      - .address_space:  global
        .offset:         8
        .size:           8
        .value_kind:     global_buffer
      - .offset:         16
        .size:           4
        .value_kind:     by_value
    .group_segment_fixed_size: 4096
    .kernarg_segment_align: 8
    .kernarg_segment_size: 20
    .language:       OpenCL C
    .language_version:
      - 2
      - 0
    .max_flat_workgroup_size: 256
    .name:           _Z6kernelI14subtract_rightLj256ELj8ELb1EJPdS1_jEEvDpT3_
    .private_segment_fixed_size: 0
    .sgpr_count:     10
    .sgpr_spill_count: 0
    .symbol:         _Z6kernelI14subtract_rightLj256ELj8ELb1EJPdS1_jEEvDpT3_.kd
    .uniform_work_group_size: 1
    .uses_dynamic_stack: false
    .vgpr_count:     34
    .vgpr_spill_count: 0
    .wavefront_size: 32
    .workgroup_processor_mode: 1
  - .args:
      - .address_space:  global
        .offset:         0
        .size:           8
        .value_kind:     global_buffer
      - .address_space:  global
        .offset:         8
        .size:           8
        .value_kind:     global_buffer
      - .offset:         16
        .size:           4
        .value_kind:     by_value
    .group_segment_fixed_size: 4096
    .kernarg_segment_align: 8
    .kernarg_segment_size: 20
    .language:       OpenCL C
    .language_version:
      - 2
      - 0
    .max_flat_workgroup_size: 256
    .name:           _Z6kernelI14subtract_rightLj256ELj16ELb1EJPdS1_jEEvDpT3_
    .private_segment_fixed_size: 0
    .sgpr_count:     10
    .sgpr_spill_count: 0
    .symbol:         _Z6kernelI14subtract_rightLj256ELj16ELb1EJPdS1_jEEvDpT3_.kd
    .uniform_work_group_size: 1
    .uses_dynamic_stack: false
    .vgpr_count:     66
    .vgpr_spill_count: 0
    .wavefront_size: 32
    .workgroup_processor_mode: 1
  - .args:
      - .address_space:  global
        .offset:         0
        .size:           8
        .value_kind:     global_buffer
      - .address_space:  global
        .offset:         8
        .size:           8
        .value_kind:     global_buffer
      - .offset:         16
        .size:           4
        .value_kind:     by_value
    .group_segment_fixed_size: 4096
    .kernarg_segment_align: 8
    .kernarg_segment_size: 20
    .language:       OpenCL C
    .language_version:
      - 2
      - 0
    .max_flat_workgroup_size: 256
    .name:           _Z6kernelI14subtract_rightLj256ELj32ELb1EJPdS1_jEEvDpT3_
    .private_segment_fixed_size: 0
    .sgpr_count:     10
    .sgpr_spill_count: 0
    .symbol:         _Z6kernelI14subtract_rightLj256ELj32ELb1EJPdS1_jEEvDpT3_.kd
    .uniform_work_group_size: 1
    .uses_dynamic_stack: false
    .vgpr_count:     94
    .vgpr_spill_count: 0
    .wavefront_size: 32
    .workgroup_processor_mode: 1
  - .args:
      - .address_space:  global
        .offset:         0
        .size:           8
        .value_kind:     global_buffer
      - .address_space:  global
        .offset:         8
        .size:           8
        .value_kind:     global_buffer
      - .address_space:  global
        .offset:         16
        .size:           8
        .value_kind:     global_buffer
      - .offset:         24
        .size:           4
        .value_kind:     by_value
    .group_segment_fixed_size: 2048
    .kernarg_segment_align: 8
    .kernarg_segment_size: 28
    .language:       OpenCL C
    .language_version:
      - 2
      - 0
    .max_flat_workgroup_size: 256
    .name:           _Z6kernelI26subtract_left_partial_tileLj256ELj1ELb0EJPiS1_S1_jEEvDpT3_
    .private_segment_fixed_size: 0
    .sgpr_count:     14
    .sgpr_spill_count: 0
    .symbol:         _Z6kernelI26subtract_left_partial_tileLj256ELj1ELb0EJPiS1_S1_jEEvDpT3_.kd
    .uniform_work_group_size: 1
    .uses_dynamic_stack: false
    .vgpr_count:     5
    .vgpr_spill_count: 0
    .wavefront_size: 32
    .workgroup_processor_mode: 1
  - .args:
      - .address_space:  global
        .offset:         0
        .size:           8
        .value_kind:     global_buffer
      - .address_space:  global
        .offset:         8
        .size:           8
        .value_kind:     global_buffer
      - .address_space:  global
        .offset:         16
        .size:           8
        .value_kind:     global_buffer
      - .offset:         24
        .size:           4
        .value_kind:     by_value
    .group_segment_fixed_size: 2048
    .kernarg_segment_align: 8
    .kernarg_segment_size: 28
    .language:       OpenCL C
    .language_version:
      - 2
      - 0
    .max_flat_workgroup_size: 256
    .name:           _Z6kernelI26subtract_left_partial_tileLj256ELj3ELb0EJPiS1_S1_jEEvDpT3_
    .private_segment_fixed_size: 0
    .sgpr_count:     14
    .sgpr_spill_count: 0
    .symbol:         _Z6kernelI26subtract_left_partial_tileLj256ELj3ELb0EJPiS1_S1_jEEvDpT3_.kd
    .uniform_work_group_size: 1
    .uses_dynamic_stack: false
    .vgpr_count:     12
    .vgpr_spill_count: 0
    .wavefront_size: 32
    .workgroup_processor_mode: 1
  - .args:
      - .address_space:  global
        .offset:         0
        .size:           8
        .value_kind:     global_buffer
      - .address_space:  global
        .offset:         8
        .size:           8
        .value_kind:     global_buffer
      - .address_space:  global
        .offset:         16
        .size:           8
        .value_kind:     global_buffer
      - .offset:         24
        .size:           4
        .value_kind:     by_value
    .group_segment_fixed_size: 2048
    .kernarg_segment_align: 8
    .kernarg_segment_size: 28
    .language:       OpenCL C
    .language_version:
      - 2
      - 0
    .max_flat_workgroup_size: 256
    .name:           _Z6kernelI26subtract_left_partial_tileLj256ELj4ELb0EJPiS1_S1_jEEvDpT3_
    .private_segment_fixed_size: 0
    .sgpr_count:     14
    .sgpr_spill_count: 0
    .symbol:         _Z6kernelI26subtract_left_partial_tileLj256ELj4ELb0EJPiS1_S1_jEEvDpT3_.kd
    .uniform_work_group_size: 1
    .uses_dynamic_stack: false
    .vgpr_count:     14
    .vgpr_spill_count: 0
    .wavefront_size: 32
    .workgroup_processor_mode: 1
  - .args:
      - .address_space:  global
        .offset:         0
        .size:           8
        .value_kind:     global_buffer
      - .address_space:  global
        .offset:         8
        .size:           8
        .value_kind:     global_buffer
      - .address_space:  global
        .offset:         16
        .size:           8
        .value_kind:     global_buffer
      - .offset:         24
        .size:           4
        .value_kind:     by_value
    .group_segment_fixed_size: 2048
    .kernarg_segment_align: 8
    .kernarg_segment_size: 28
    .language:       OpenCL C
    .language_version:
      - 2
      - 0
    .max_flat_workgroup_size: 256
    .name:           _Z6kernelI26subtract_left_partial_tileLj256ELj8ELb0EJPiS1_S1_jEEvDpT3_
    .private_segment_fixed_size: 0
    .sgpr_count:     16
    .sgpr_spill_count: 0
    .symbol:         _Z6kernelI26subtract_left_partial_tileLj256ELj8ELb0EJPiS1_S1_jEEvDpT3_.kd
    .uniform_work_group_size: 1
    .uses_dynamic_stack: false
    .vgpr_count:     27
    .vgpr_spill_count: 0
    .wavefront_size: 32
    .workgroup_processor_mode: 1
  - .args:
      - .address_space:  global
        .offset:         0
        .size:           8
        .value_kind:     global_buffer
      - .address_space:  global
        .offset:         8
        .size:           8
        .value_kind:     global_buffer
      - .address_space:  global
        .offset:         16
        .size:           8
        .value_kind:     global_buffer
      - .offset:         24
        .size:           4
        .value_kind:     by_value
    .group_segment_fixed_size: 2048
    .kernarg_segment_align: 8
    .kernarg_segment_size: 28
    .language:       OpenCL C
    .language_version:
      - 2
      - 0
    .max_flat_workgroup_size: 256
    .name:           _Z6kernelI26subtract_left_partial_tileLj256ELj16ELb0EJPiS1_S1_jEEvDpT3_
    .private_segment_fixed_size: 0
    .sgpr_count:     14
    .sgpr_spill_count: 0
    .symbol:         _Z6kernelI26subtract_left_partial_tileLj256ELj16ELb0EJPiS1_S1_jEEvDpT3_.kd
    .uniform_work_group_size: 1
    .uses_dynamic_stack: false
    .vgpr_count:     51
    .vgpr_spill_count: 0
    .wavefront_size: 32
    .workgroup_processor_mode: 1
  - .args:
      - .address_space:  global
        .offset:         0
        .size:           8
        .value_kind:     global_buffer
      - .address_space:  global
        .offset:         8
        .size:           8
        .value_kind:     global_buffer
      - .address_space:  global
        .offset:         16
        .size:           8
        .value_kind:     global_buffer
      - .offset:         24
        .size:           4
        .value_kind:     by_value
    .group_segment_fixed_size: 2048
    .kernarg_segment_align: 8
    .kernarg_segment_size: 28
    .language:       OpenCL C
    .language_version:
      - 2
      - 0
    .max_flat_workgroup_size: 256
    .name:           _Z6kernelI26subtract_left_partial_tileLj256ELj32ELb0EJPiS1_S1_jEEvDpT3_
    .private_segment_fixed_size: 0
    .sgpr_count:     14
    .sgpr_spill_count: 0
    .symbol:         _Z6kernelI26subtract_left_partial_tileLj256ELj32ELb0EJPiS1_S1_jEEvDpT3_.kd
    .uniform_work_group_size: 1
    .uses_dynamic_stack: false
    .vgpr_count:     91
    .vgpr_spill_count: 0
    .wavefront_size: 32
    .workgroup_processor_mode: 1
  - .args:
      - .address_space:  global
        .offset:         0
        .size:           8
        .value_kind:     global_buffer
      - .address_space:  global
        .offset:         8
        .size:           8
        .value_kind:     global_buffer
      - .address_space:  global
        .offset:         16
        .size:           8
        .value_kind:     global_buffer
      - .offset:         24
        .size:           4
        .value_kind:     by_value
    .group_segment_fixed_size: 2048
    .kernarg_segment_align: 8
    .kernarg_segment_size: 28
    .language:       OpenCL C
    .language_version:
      - 2
      - 0
    .max_flat_workgroup_size: 256
    .name:           _Z6kernelI26subtract_left_partial_tileLj256ELj1ELb0EJPfPiS1_jEEvDpT3_
    .private_segment_fixed_size: 0
    .sgpr_count:     14
    .sgpr_spill_count: 0
    .symbol:         _Z6kernelI26subtract_left_partial_tileLj256ELj1ELb0EJPfPiS1_jEEvDpT3_.kd
    .uniform_work_group_size: 1
    .uses_dynamic_stack: false
    .vgpr_count:     5
    .vgpr_spill_count: 0
    .wavefront_size: 32
    .workgroup_processor_mode: 1
  - .args:
      - .address_space:  global
        .offset:         0
        .size:           8
        .value_kind:     global_buffer
      - .address_space:  global
        .offset:         8
        .size:           8
        .value_kind:     global_buffer
      - .address_space:  global
        .offset:         16
        .size:           8
        .value_kind:     global_buffer
      - .offset:         24
        .size:           4
        .value_kind:     by_value
    .group_segment_fixed_size: 2048
    .kernarg_segment_align: 8
    .kernarg_segment_size: 28
    .language:       OpenCL C
    .language_version:
      - 2
      - 0
    .max_flat_workgroup_size: 256
    .name:           _Z6kernelI26subtract_left_partial_tileLj256ELj3ELb0EJPfPiS1_jEEvDpT3_
    .private_segment_fixed_size: 0
    .sgpr_count:     14
    .sgpr_spill_count: 0
    .symbol:         _Z6kernelI26subtract_left_partial_tileLj256ELj3ELb0EJPfPiS1_jEEvDpT3_.kd
    .uniform_work_group_size: 1
    .uses_dynamic_stack: false
    .vgpr_count:     12
    .vgpr_spill_count: 0
    .wavefront_size: 32
    .workgroup_processor_mode: 1
  - .args:
      - .address_space:  global
        .offset:         0
        .size:           8
        .value_kind:     global_buffer
      - .address_space:  global
        .offset:         8
        .size:           8
        .value_kind:     global_buffer
      - .address_space:  global
        .offset:         16
        .size:           8
        .value_kind:     global_buffer
      - .offset:         24
        .size:           4
        .value_kind:     by_value
    .group_segment_fixed_size: 2048
    .kernarg_segment_align: 8
    .kernarg_segment_size: 28
    .language:       OpenCL C
    .language_version:
      - 2
      - 0
    .max_flat_workgroup_size: 256
    .name:           _Z6kernelI26subtract_left_partial_tileLj256ELj4ELb0EJPfPiS1_jEEvDpT3_
    .private_segment_fixed_size: 0
    .sgpr_count:     14
    .sgpr_spill_count: 0
    .symbol:         _Z6kernelI26subtract_left_partial_tileLj256ELj4ELb0EJPfPiS1_jEEvDpT3_.kd
    .uniform_work_group_size: 1
    .uses_dynamic_stack: false
    .vgpr_count:     14
    .vgpr_spill_count: 0
    .wavefront_size: 32
    .workgroup_processor_mode: 1
  - .args:
      - .address_space:  global
        .offset:         0
        .size:           8
        .value_kind:     global_buffer
      - .address_space:  global
        .offset:         8
        .size:           8
        .value_kind:     global_buffer
      - .address_space:  global
        .offset:         16
        .size:           8
        .value_kind:     global_buffer
      - .offset:         24
        .size:           4
        .value_kind:     by_value
    .group_segment_fixed_size: 2048
    .kernarg_segment_align: 8
    .kernarg_segment_size: 28
    .language:       OpenCL C
    .language_version:
      - 2
      - 0
    .max_flat_workgroup_size: 256
    .name:           _Z6kernelI26subtract_left_partial_tileLj256ELj8ELb0EJPfPiS1_jEEvDpT3_
    .private_segment_fixed_size: 0
    .sgpr_count:     16
    .sgpr_spill_count: 0
    .symbol:         _Z6kernelI26subtract_left_partial_tileLj256ELj8ELb0EJPfPiS1_jEEvDpT3_.kd
    .uniform_work_group_size: 1
    .uses_dynamic_stack: false
    .vgpr_count:     27
    .vgpr_spill_count: 0
    .wavefront_size: 32
    .workgroup_processor_mode: 1
  - .args:
      - .address_space:  global
        .offset:         0
        .size:           8
        .value_kind:     global_buffer
      - .address_space:  global
        .offset:         8
        .size:           8
        .value_kind:     global_buffer
      - .address_space:  global
        .offset:         16
        .size:           8
        .value_kind:     global_buffer
      - .offset:         24
        .size:           4
        .value_kind:     by_value
    .group_segment_fixed_size: 2048
    .kernarg_segment_align: 8
    .kernarg_segment_size: 28
    .language:       OpenCL C
    .language_version:
      - 2
      - 0
    .max_flat_workgroup_size: 256
    .name:           _Z6kernelI26subtract_left_partial_tileLj256ELj16ELb0EJPfPiS1_jEEvDpT3_
    .private_segment_fixed_size: 0
    .sgpr_count:     14
    .sgpr_spill_count: 0
    .symbol:         _Z6kernelI26subtract_left_partial_tileLj256ELj16ELb0EJPfPiS1_jEEvDpT3_.kd
    .uniform_work_group_size: 1
    .uses_dynamic_stack: false
    .vgpr_count:     51
    .vgpr_spill_count: 0
    .wavefront_size: 32
    .workgroup_processor_mode: 1
  - .args:
      - .address_space:  global
        .offset:         0
        .size:           8
        .value_kind:     global_buffer
      - .address_space:  global
        .offset:         8
        .size:           8
        .value_kind:     global_buffer
      - .address_space:  global
        .offset:         16
        .size:           8
        .value_kind:     global_buffer
      - .offset:         24
        .size:           4
        .value_kind:     by_value
    .group_segment_fixed_size: 2048
    .kernarg_segment_align: 8
    .kernarg_segment_size: 28
    .language:       OpenCL C
    .language_version:
      - 2
      - 0
    .max_flat_workgroup_size: 256
    .name:           _Z6kernelI26subtract_left_partial_tileLj256ELj32ELb0EJPfPiS1_jEEvDpT3_
    .private_segment_fixed_size: 0
    .sgpr_count:     14
    .sgpr_spill_count: 0
    .symbol:         _Z6kernelI26subtract_left_partial_tileLj256ELj32ELb0EJPfPiS1_jEEvDpT3_.kd
    .uniform_work_group_size: 1
    .uses_dynamic_stack: false
    .vgpr_count:     90
    .vgpr_spill_count: 0
    .wavefront_size: 32
    .workgroup_processor_mode: 1
  - .args:
      - .address_space:  global
        .offset:         0
        .size:           8
        .value_kind:     global_buffer
      - .address_space:  global
        .offset:         8
        .size:           8
        .value_kind:     global_buffer
      - .address_space:  global
        .offset:         16
        .size:           8
        .value_kind:     global_buffer
      - .offset:         24
        .size:           4
        .value_kind:     by_value
    .group_segment_fixed_size: 512
    .kernarg_segment_align: 8
    .kernarg_segment_size: 28
    .language:       OpenCL C
    .language_version:
      - 2
      - 0
    .max_flat_workgroup_size: 256
    .name:           _Z6kernelI26subtract_left_partial_tileLj256ELj1ELb0EJPaPiS1_jEEvDpT3_
    .private_segment_fixed_size: 0
    .sgpr_count:     14
    .sgpr_spill_count: 0
    .symbol:         _Z6kernelI26subtract_left_partial_tileLj256ELj1ELb0EJPaPiS1_jEEvDpT3_.kd
    .uniform_work_group_size: 1
    .uses_dynamic_stack: false
    .vgpr_count:     4
    .vgpr_spill_count: 0
    .wavefront_size: 32
    .workgroup_processor_mode: 1
  - .args:
      - .address_space:  global
        .offset:         0
        .size:           8
        .value_kind:     global_buffer
      - .address_space:  global
        .offset:         8
        .size:           8
        .value_kind:     global_buffer
      - .address_space:  global
        .offset:         16
        .size:           8
        .value_kind:     global_buffer
      - .offset:         24
        .size:           4
        .value_kind:     by_value
    .group_segment_fixed_size: 512
    .kernarg_segment_align: 8
    .kernarg_segment_size: 28
    .language:       OpenCL C
    .language_version:
      - 2
      - 0
    .max_flat_workgroup_size: 256
    .name:           _Z6kernelI26subtract_left_partial_tileLj256ELj3ELb0EJPaPiS1_jEEvDpT3_
    .private_segment_fixed_size: 0
    .sgpr_count:     14
    .sgpr_spill_count: 0
    .symbol:         _Z6kernelI26subtract_left_partial_tileLj256ELj3ELb0EJPaPiS1_jEEvDpT3_.kd
    .uniform_work_group_size: 1
    .uses_dynamic_stack: false
    .vgpr_count:     12
    .vgpr_spill_count: 0
    .wavefront_size: 32
    .workgroup_processor_mode: 1
  - .args:
      - .address_space:  global
        .offset:         0
        .size:           8
        .value_kind:     global_buffer
      - .address_space:  global
        .offset:         8
        .size:           8
        .value_kind:     global_buffer
      - .address_space:  global
        .offset:         16
        .size:           8
        .value_kind:     global_buffer
      - .offset:         24
        .size:           4
        .value_kind:     by_value
    .group_segment_fixed_size: 512
    .kernarg_segment_align: 8
    .kernarg_segment_size: 28
    .language:       OpenCL C
    .language_version:
      - 2
      - 0
    .max_flat_workgroup_size: 256
    .name:           _Z6kernelI26subtract_left_partial_tileLj256ELj4ELb0EJPaPiS1_jEEvDpT3_
    .private_segment_fixed_size: 0
    .sgpr_count:     14
    .sgpr_spill_count: 0
    .symbol:         _Z6kernelI26subtract_left_partial_tileLj256ELj4ELb0EJPaPiS1_jEEvDpT3_.kd
    .uniform_work_group_size: 1
    .uses_dynamic_stack: false
    .vgpr_count:     14
    .vgpr_spill_count: 0
    .wavefront_size: 32
    .workgroup_processor_mode: 1
  - .args:
      - .address_space:  global
        .offset:         0
        .size:           8
        .value_kind:     global_buffer
      - .address_space:  global
        .offset:         8
        .size:           8
        .value_kind:     global_buffer
      - .address_space:  global
        .offset:         16
        .size:           8
        .value_kind:     global_buffer
      - .offset:         24
        .size:           4
        .value_kind:     by_value
    .group_segment_fixed_size: 512
    .kernarg_segment_align: 8
    .kernarg_segment_size: 28
    .language:       OpenCL C
    .language_version:
      - 2
      - 0
    .max_flat_workgroup_size: 256
    .name:           _Z6kernelI26subtract_left_partial_tileLj256ELj8ELb0EJPaPiS1_jEEvDpT3_
    .private_segment_fixed_size: 0
    .sgpr_count:     14
    .sgpr_spill_count: 0
    .symbol:         _Z6kernelI26subtract_left_partial_tileLj256ELj8ELb0EJPaPiS1_jEEvDpT3_.kd
    .uniform_work_group_size: 1
    .uses_dynamic_stack: false
    .vgpr_count:     28
    .vgpr_spill_count: 0
    .wavefront_size: 32
    .workgroup_processor_mode: 1
  - .args:
      - .address_space:  global
        .offset:         0
        .size:           8
        .value_kind:     global_buffer
      - .address_space:  global
        .offset:         8
        .size:           8
        .value_kind:     global_buffer
      - .address_space:  global
        .offset:         16
        .size:           8
        .value_kind:     global_buffer
      - .offset:         24
        .size:           4
        .value_kind:     by_value
    .group_segment_fixed_size: 512
    .kernarg_segment_align: 8
    .kernarg_segment_size: 28
    .language:       OpenCL C
    .language_version:
      - 2
      - 0
    .max_flat_workgroup_size: 256
    .name:           _Z6kernelI26subtract_left_partial_tileLj256ELj16ELb0EJPaPiS1_jEEvDpT3_
    .private_segment_fixed_size: 0
    .sgpr_count:     14
    .sgpr_spill_count: 0
    .symbol:         _Z6kernelI26subtract_left_partial_tileLj256ELj16ELb0EJPaPiS1_jEEvDpT3_.kd
    .uniform_work_group_size: 1
    .uses_dynamic_stack: false
    .vgpr_count:     47
    .vgpr_spill_count: 0
    .wavefront_size: 32
    .workgroup_processor_mode: 1
  - .args:
      - .address_space:  global
        .offset:         0
        .size:           8
        .value_kind:     global_buffer
      - .address_space:  global
        .offset:         8
        .size:           8
        .value_kind:     global_buffer
      - .address_space:  global
        .offset:         16
        .size:           8
        .value_kind:     global_buffer
      - .offset:         24
        .size:           4
        .value_kind:     by_value
    .group_segment_fixed_size: 512
    .kernarg_segment_align: 8
    .kernarg_segment_size: 28
    .language:       OpenCL C
    .language_version:
      - 2
      - 0
    .max_flat_workgroup_size: 256
    .name:           _Z6kernelI26subtract_left_partial_tileLj256ELj32ELb0EJPaPiS1_jEEvDpT3_
    .private_segment_fixed_size: 0
    .sgpr_count:     14
    .sgpr_spill_count: 0
    .symbol:         _Z6kernelI26subtract_left_partial_tileLj256ELj32ELb0EJPaPiS1_jEEvDpT3_.kd
    .uniform_work_group_size: 1
    .uses_dynamic_stack: false
    .vgpr_count:     93
    .vgpr_spill_count: 0
    .wavefront_size: 32
    .workgroup_processor_mode: 1
  - .args:
      - .address_space:  global
        .offset:         0
        .size:           8
        .value_kind:     global_buffer
      - .address_space:  global
        .offset:         8
        .size:           8
        .value_kind:     global_buffer
      - .address_space:  global
        .offset:         16
        .size:           8
        .value_kind:     global_buffer
      - .offset:         24
        .size:           4
        .value_kind:     by_value
    .group_segment_fixed_size: 4096
    .kernarg_segment_align: 8
    .kernarg_segment_size: 28
    .language:       OpenCL C
    .language_version:
      - 2
      - 0
    .max_flat_workgroup_size: 256
    .name:           _Z6kernelI26subtract_left_partial_tileLj256ELj1ELb0EJPxPiS1_jEEvDpT3_
    .private_segment_fixed_size: 0
    .sgpr_count:     14
    .sgpr_spill_count: 0
    .symbol:         _Z6kernelI26subtract_left_partial_tileLj256ELj1ELb0EJPxPiS1_jEEvDpT3_.kd
    .uniform_work_group_size: 1
    .uses_dynamic_stack: false
    .vgpr_count:     7
    .vgpr_spill_count: 0
    .wavefront_size: 32
    .workgroup_processor_mode: 1
  - .args:
      - .address_space:  global
        .offset:         0
        .size:           8
        .value_kind:     global_buffer
      - .address_space:  global
        .offset:         8
        .size:           8
        .value_kind:     global_buffer
      - .address_space:  global
        .offset:         16
        .size:           8
        .value_kind:     global_buffer
      - .offset:         24
        .size:           4
        .value_kind:     by_value
    .group_segment_fixed_size: 4096
    .kernarg_segment_align: 8
    .kernarg_segment_size: 28
    .language:       OpenCL C
    .language_version:
      - 2
      - 0
    .max_flat_workgroup_size: 256
    .name:           _Z6kernelI26subtract_left_partial_tileLj256ELj3ELb0EJPxPiS1_jEEvDpT3_
    .private_segment_fixed_size: 0
    .sgpr_count:     14
    .sgpr_spill_count: 0
    .symbol:         _Z6kernelI26subtract_left_partial_tileLj256ELj3ELb0EJPxPiS1_jEEvDpT3_.kd
    .uniform_work_group_size: 1
    .uses_dynamic_stack: false
    .vgpr_count:     18
    .vgpr_spill_count: 0
    .wavefront_size: 32
    .workgroup_processor_mode: 1
  - .args:
      - .address_space:  global
        .offset:         0
        .size:           8
        .value_kind:     global_buffer
      - .address_space:  global
        .offset:         8
        .size:           8
        .value_kind:     global_buffer
      - .address_space:  global
        .offset:         16
        .size:           8
        .value_kind:     global_buffer
      - .offset:         24
        .size:           4
        .value_kind:     by_value
    .group_segment_fixed_size: 4096
    .kernarg_segment_align: 8
    .kernarg_segment_size: 28
    .language:       OpenCL C
    .language_version:
      - 2
      - 0
    .max_flat_workgroup_size: 256
    .name:           _Z6kernelI26subtract_left_partial_tileLj256ELj4ELb0EJPxPiS1_jEEvDpT3_
    .private_segment_fixed_size: 0
    .sgpr_count:     14
    .sgpr_spill_count: 0
    .symbol:         _Z6kernelI26subtract_left_partial_tileLj256ELj4ELb0EJPxPiS1_jEEvDpT3_.kd
    .uniform_work_group_size: 1
    .uses_dynamic_stack: false
    .vgpr_count:     23
    .vgpr_spill_count: 0
    .wavefront_size: 32
    .workgroup_processor_mode: 1
  - .args:
      - .address_space:  global
        .offset:         0
        .size:           8
        .value_kind:     global_buffer
      - .address_space:  global
        .offset:         8
        .size:           8
        .value_kind:     global_buffer
      - .address_space:  global
        .offset:         16
        .size:           8
        .value_kind:     global_buffer
      - .offset:         24
        .size:           4
        .value_kind:     by_value
    .group_segment_fixed_size: 4096
    .kernarg_segment_align: 8
    .kernarg_segment_size: 28
    .language:       OpenCL C
    .language_version:
      - 2
      - 0
    .max_flat_workgroup_size: 256
    .name:           _Z6kernelI26subtract_left_partial_tileLj256ELj8ELb0EJPxPiS1_jEEvDpT3_
    .private_segment_fixed_size: 0
    .sgpr_count:     18
    .sgpr_spill_count: 0
    .symbol:         _Z6kernelI26subtract_left_partial_tileLj256ELj8ELb0EJPxPiS1_jEEvDpT3_.kd
    .uniform_work_group_size: 1
    .uses_dynamic_stack: false
    .vgpr_count:     42
    .vgpr_spill_count: 0
    .wavefront_size: 32
    .workgroup_processor_mode: 1
  - .args:
      - .address_space:  global
        .offset:         0
        .size:           8
        .value_kind:     global_buffer
      - .address_space:  global
        .offset:         8
        .size:           8
        .value_kind:     global_buffer
      - .address_space:  global
        .offset:         16
        .size:           8
        .value_kind:     global_buffer
      - .offset:         24
        .size:           4
        .value_kind:     by_value
    .group_segment_fixed_size: 4096
    .kernarg_segment_align: 8
    .kernarg_segment_size: 28
    .language:       OpenCL C
    .language_version:
      - 2
      - 0
    .max_flat_workgroup_size: 256
    .name:           _Z6kernelI26subtract_left_partial_tileLj256ELj16ELb0EJPxPiS1_jEEvDpT3_
    .private_segment_fixed_size: 0
    .sgpr_count:     16
    .sgpr_spill_count: 0
    .symbol:         _Z6kernelI26subtract_left_partial_tileLj256ELj16ELb0EJPxPiS1_jEEvDpT3_.kd
    .uniform_work_group_size: 1
    .uses_dynamic_stack: false
    .vgpr_count:     83
    .vgpr_spill_count: 0
    .wavefront_size: 32
    .workgroup_processor_mode: 1
  - .args:
      - .address_space:  global
        .offset:         0
        .size:           8
        .value_kind:     global_buffer
      - .address_space:  global
        .offset:         8
        .size:           8
        .value_kind:     global_buffer
      - .address_space:  global
        .offset:         16
        .size:           8
        .value_kind:     global_buffer
      - .offset:         24
        .size:           4
        .value_kind:     by_value
    .group_segment_fixed_size: 4096
    .kernarg_segment_align: 8
    .kernarg_segment_size: 28
    .language:       OpenCL C
    .language_version:
      - 2
      - 0
    .max_flat_workgroup_size: 256
    .name:           _Z6kernelI26subtract_left_partial_tileLj256ELj32ELb0EJPxPiS1_jEEvDpT3_
    .private_segment_fixed_size: 0
    .sgpr_count:     16
    .sgpr_spill_count: 0
    .symbol:         _Z6kernelI26subtract_left_partial_tileLj256ELj32ELb0EJPxPiS1_jEEvDpT3_.kd
    .uniform_work_group_size: 1
    .uses_dynamic_stack: false
    .vgpr_count:     114
    .vgpr_spill_count: 0
    .wavefront_size: 32
    .workgroup_processor_mode: 1
  - .args:
      - .address_space:  global
        .offset:         0
        .size:           8
        .value_kind:     global_buffer
      - .address_space:  global
        .offset:         8
        .size:           8
        .value_kind:     global_buffer
      - .address_space:  global
        .offset:         16
        .size:           8
        .value_kind:     global_buffer
      - .offset:         24
        .size:           4
        .value_kind:     by_value
    .group_segment_fixed_size: 4096
    .kernarg_segment_align: 8
    .kernarg_segment_size: 28
    .language:       OpenCL C
    .language_version:
      - 2
      - 0
    .max_flat_workgroup_size: 256
    .name:           _Z6kernelI26subtract_left_partial_tileLj256ELj1ELb0EJPdPiS1_jEEvDpT3_
    .private_segment_fixed_size: 0
    .sgpr_count:     14
    .sgpr_spill_count: 0
    .symbol:         _Z6kernelI26subtract_left_partial_tileLj256ELj1ELb0EJPdPiS1_jEEvDpT3_.kd
    .uniform_work_group_size: 1
    .uses_dynamic_stack: false
    .vgpr_count:     7
    .vgpr_spill_count: 0
    .wavefront_size: 32
    .workgroup_processor_mode: 1
  - .args:
      - .address_space:  global
        .offset:         0
        .size:           8
        .value_kind:     global_buffer
      - .address_space:  global
        .offset:         8
        .size:           8
        .value_kind:     global_buffer
      - .address_space:  global
        .offset:         16
        .size:           8
        .value_kind:     global_buffer
      - .offset:         24
        .size:           4
        .value_kind:     by_value
    .group_segment_fixed_size: 4096
    .kernarg_segment_align: 8
    .kernarg_segment_size: 28
    .language:       OpenCL C
    .language_version:
      - 2
      - 0
    .max_flat_workgroup_size: 256
    .name:           _Z6kernelI26subtract_left_partial_tileLj256ELj3ELb0EJPdPiS1_jEEvDpT3_
    .private_segment_fixed_size: 0
    .sgpr_count:     14
    .sgpr_spill_count: 0
    .symbol:         _Z6kernelI26subtract_left_partial_tileLj256ELj3ELb0EJPdPiS1_jEEvDpT3_.kd
    .uniform_work_group_size: 1
    .uses_dynamic_stack: false
    .vgpr_count:     18
    .vgpr_spill_count: 0
    .wavefront_size: 32
    .workgroup_processor_mode: 1
  - .args:
      - .address_space:  global
        .offset:         0
        .size:           8
        .value_kind:     global_buffer
      - .address_space:  global
        .offset:         8
        .size:           8
        .value_kind:     global_buffer
      - .address_space:  global
        .offset:         16
        .size:           8
        .value_kind:     global_buffer
      - .offset:         24
        .size:           4
        .value_kind:     by_value
    .group_segment_fixed_size: 4096
    .kernarg_segment_align: 8
    .kernarg_segment_size: 28
    .language:       OpenCL C
    .language_version:
      - 2
      - 0
    .max_flat_workgroup_size: 256
    .name:           _Z6kernelI26subtract_left_partial_tileLj256ELj4ELb0EJPdPiS1_jEEvDpT3_
    .private_segment_fixed_size: 0
    .sgpr_count:     18
    .sgpr_spill_count: 0
    .symbol:         _Z6kernelI26subtract_left_partial_tileLj256ELj4ELb0EJPdPiS1_jEEvDpT3_.kd
    .uniform_work_group_size: 1
    .uses_dynamic_stack: false
    .vgpr_count:     23
    .vgpr_spill_count: 0
    .wavefront_size: 32
    .workgroup_processor_mode: 1
  - .args:
      - .address_space:  global
        .offset:         0
        .size:           8
        .value_kind:     global_buffer
      - .address_space:  global
        .offset:         8
        .size:           8
        .value_kind:     global_buffer
      - .address_space:  global
        .offset:         16
        .size:           8
        .value_kind:     global_buffer
      - .offset:         24
        .size:           4
        .value_kind:     by_value
    .group_segment_fixed_size: 4096
    .kernarg_segment_align: 8
    .kernarg_segment_size: 28
    .language:       OpenCL C
    .language_version:
      - 2
      - 0
    .max_flat_workgroup_size: 256
    .name:           _Z6kernelI26subtract_left_partial_tileLj256ELj8ELb0EJPdPiS1_jEEvDpT3_
    .private_segment_fixed_size: 0
    .sgpr_count:     18
    .sgpr_spill_count: 0
    .symbol:         _Z6kernelI26subtract_left_partial_tileLj256ELj8ELb0EJPdPiS1_jEEvDpT3_.kd
    .uniform_work_group_size: 1
    .uses_dynamic_stack: false
    .vgpr_count:     42
    .vgpr_spill_count: 0
    .wavefront_size: 32
    .workgroup_processor_mode: 1
  - .args:
      - .address_space:  global
        .offset:         0
        .size:           8
        .value_kind:     global_buffer
      - .address_space:  global
        .offset:         8
        .size:           8
        .value_kind:     global_buffer
      - .address_space:  global
        .offset:         16
        .size:           8
        .value_kind:     global_buffer
      - .offset:         24
        .size:           4
        .value_kind:     by_value
    .group_segment_fixed_size: 4096
    .kernarg_segment_align: 8
    .kernarg_segment_size: 28
    .language:       OpenCL C
    .language_version:
      - 2
      - 0
    .max_flat_workgroup_size: 256
    .name:           _Z6kernelI26subtract_left_partial_tileLj256ELj16ELb0EJPdPiS1_jEEvDpT3_
    .private_segment_fixed_size: 0
    .sgpr_count:     18
    .sgpr_spill_count: 0
    .symbol:         _Z6kernelI26subtract_left_partial_tileLj256ELj16ELb0EJPdPiS1_jEEvDpT3_.kd
    .uniform_work_group_size: 1
    .uses_dynamic_stack: false
    .vgpr_count:     83
    .vgpr_spill_count: 0
    .wavefront_size: 32
    .workgroup_processor_mode: 1
  - .args:
      - .address_space:  global
        .offset:         0
        .size:           8
        .value_kind:     global_buffer
      - .address_space:  global
        .offset:         8
        .size:           8
        .value_kind:     global_buffer
      - .address_space:  global
        .offset:         16
        .size:           8
        .value_kind:     global_buffer
      - .offset:         24
        .size:           4
        .value_kind:     by_value
    .group_segment_fixed_size: 4096
    .kernarg_segment_align: 8
    .kernarg_segment_size: 28
    .language:       OpenCL C
    .language_version:
      - 2
      - 0
    .max_flat_workgroup_size: 256
    .name:           _Z6kernelI26subtract_left_partial_tileLj256ELj32ELb0EJPdPiS1_jEEvDpT3_
    .private_segment_fixed_size: 0
    .sgpr_count:     18
    .sgpr_spill_count: 0
    .symbol:         _Z6kernelI26subtract_left_partial_tileLj256ELj32ELb0EJPdPiS1_jEEvDpT3_.kd
    .uniform_work_group_size: 1
    .uses_dynamic_stack: false
    .vgpr_count:     143
    .vgpr_spill_count: 0
    .wavefront_size: 32
    .workgroup_processor_mode: 1
  - .args:
      - .address_space:  global
        .offset:         0
        .size:           8
        .value_kind:     global_buffer
      - .address_space:  global
        .offset:         8
        .size:           8
        .value_kind:     global_buffer
      - .address_space:  global
        .offset:         16
        .size:           8
        .value_kind:     global_buffer
      - .offset:         24
        .size:           4
        .value_kind:     by_value
    .group_segment_fixed_size: 2048
    .kernarg_segment_align: 8
    .kernarg_segment_size: 28
    .language:       OpenCL C
    .language_version:
      - 2
      - 0
    .max_flat_workgroup_size: 256
    .name:           _Z6kernelI26subtract_left_partial_tileLj256ELj1ELb1EJPiS1_S1_jEEvDpT3_
    .private_segment_fixed_size: 0
    .sgpr_count:     14
    .sgpr_spill_count: 0
    .symbol:         _Z6kernelI26subtract_left_partial_tileLj256ELj1ELb1EJPiS1_S1_jEEvDpT3_.kd
    .uniform_work_group_size: 1
    .uses_dynamic_stack: false
    .vgpr_count:     5
    .vgpr_spill_count: 0
    .wavefront_size: 32
    .workgroup_processor_mode: 1
  - .args:
      - .address_space:  global
        .offset:         0
        .size:           8
        .value_kind:     global_buffer
      - .address_space:  global
        .offset:         8
        .size:           8
        .value_kind:     global_buffer
      - .address_space:  global
        .offset:         16
        .size:           8
        .value_kind:     global_buffer
      - .offset:         24
        .size:           4
        .value_kind:     by_value
    .group_segment_fixed_size: 2048
    .kernarg_segment_align: 8
    .kernarg_segment_size: 28
    .language:       OpenCL C
    .language_version:
      - 2
      - 0
    .max_flat_workgroup_size: 256
    .name:           _Z6kernelI26subtract_left_partial_tileLj256ELj3ELb1EJPiS1_S1_jEEvDpT3_
    .private_segment_fixed_size: 0
    .sgpr_count:     14
    .sgpr_spill_count: 0
    .symbol:         _Z6kernelI26subtract_left_partial_tileLj256ELj3ELb1EJPiS1_S1_jEEvDpT3_.kd
    .uniform_work_group_size: 1
    .uses_dynamic_stack: false
    .vgpr_count:     12
    .vgpr_spill_count: 0
    .wavefront_size: 32
    .workgroup_processor_mode: 1
  - .args:
      - .address_space:  global
        .offset:         0
        .size:           8
        .value_kind:     global_buffer
      - .address_space:  global
        .offset:         8
        .size:           8
        .value_kind:     global_buffer
      - .address_space:  global
        .offset:         16
        .size:           8
        .value_kind:     global_buffer
      - .offset:         24
        .size:           4
        .value_kind:     by_value
    .group_segment_fixed_size: 2048
    .kernarg_segment_align: 8
    .kernarg_segment_size: 28
    .language:       OpenCL C
    .language_version:
      - 2
      - 0
    .max_flat_workgroup_size: 256
    .name:           _Z6kernelI26subtract_left_partial_tileLj256ELj4ELb1EJPiS1_S1_jEEvDpT3_
    .private_segment_fixed_size: 0
    .sgpr_count:     14
    .sgpr_spill_count: 0
    .symbol:         _Z6kernelI26subtract_left_partial_tileLj256ELj4ELb1EJPiS1_S1_jEEvDpT3_.kd
    .uniform_work_group_size: 1
    .uses_dynamic_stack: false
    .vgpr_count:     14
    .vgpr_spill_count: 0
    .wavefront_size: 32
    .workgroup_processor_mode: 1
  - .args:
      - .address_space:  global
        .offset:         0
        .size:           8
        .value_kind:     global_buffer
      - .address_space:  global
        .offset:         8
        .size:           8
        .value_kind:     global_buffer
      - .address_space:  global
        .offset:         16
        .size:           8
        .value_kind:     global_buffer
      - .offset:         24
        .size:           4
        .value_kind:     by_value
    .group_segment_fixed_size: 2048
    .kernarg_segment_align: 8
    .kernarg_segment_size: 28
    .language:       OpenCL C
    .language_version:
      - 2
      - 0
    .max_flat_workgroup_size: 256
    .name:           _Z6kernelI26subtract_left_partial_tileLj256ELj8ELb1EJPiS1_S1_jEEvDpT3_
    .private_segment_fixed_size: 0
    .sgpr_count:     16
    .sgpr_spill_count: 0
    .symbol:         _Z6kernelI26subtract_left_partial_tileLj256ELj8ELb1EJPiS1_S1_jEEvDpT3_.kd
    .uniform_work_group_size: 1
    .uses_dynamic_stack: false
    .vgpr_count:     27
    .vgpr_spill_count: 0
    .wavefront_size: 32
    .workgroup_processor_mode: 1
  - .args:
      - .address_space:  global
        .offset:         0
        .size:           8
        .value_kind:     global_buffer
      - .address_space:  global
        .offset:         8
        .size:           8
        .value_kind:     global_buffer
      - .address_space:  global
        .offset:         16
        .size:           8
        .value_kind:     global_buffer
      - .offset:         24
        .size:           4
        .value_kind:     by_value
    .group_segment_fixed_size: 2048
    .kernarg_segment_align: 8
    .kernarg_segment_size: 28
    .language:       OpenCL C
    .language_version:
      - 2
      - 0
    .max_flat_workgroup_size: 256
    .name:           _Z6kernelI26subtract_left_partial_tileLj256ELj16ELb1EJPiS1_S1_jEEvDpT3_
    .private_segment_fixed_size: 0
    .sgpr_count:     14
    .sgpr_spill_count: 0
    .symbol:         _Z6kernelI26subtract_left_partial_tileLj256ELj16ELb1EJPiS1_S1_jEEvDpT3_.kd
    .uniform_work_group_size: 1
    .uses_dynamic_stack: false
    .vgpr_count:     51
    .vgpr_spill_count: 0
    .wavefront_size: 32
    .workgroup_processor_mode: 1
  - .args:
      - .address_space:  global
        .offset:         0
        .size:           8
        .value_kind:     global_buffer
      - .address_space:  global
        .offset:         8
        .size:           8
        .value_kind:     global_buffer
      - .address_space:  global
        .offset:         16
        .size:           8
        .value_kind:     global_buffer
      - .offset:         24
        .size:           4
        .value_kind:     by_value
    .group_segment_fixed_size: 2048
    .kernarg_segment_align: 8
    .kernarg_segment_size: 28
    .language:       OpenCL C
    .language_version:
      - 2
      - 0
    .max_flat_workgroup_size: 256
    .name:           _Z6kernelI26subtract_left_partial_tileLj256ELj32ELb1EJPiS1_S1_jEEvDpT3_
    .private_segment_fixed_size: 0
    .sgpr_count:     14
    .sgpr_spill_count: 0
    .symbol:         _Z6kernelI26subtract_left_partial_tileLj256ELj32ELb1EJPiS1_S1_jEEvDpT3_.kd
    .uniform_work_group_size: 1
    .uses_dynamic_stack: false
    .vgpr_count:     95
    .vgpr_spill_count: 0
    .wavefront_size: 32
    .workgroup_processor_mode: 1
  - .args:
      - .address_space:  global
        .offset:         0
        .size:           8
        .value_kind:     global_buffer
      - .address_space:  global
        .offset:         8
        .size:           8
        .value_kind:     global_buffer
      - .address_space:  global
        .offset:         16
        .size:           8
        .value_kind:     global_buffer
      - .offset:         24
        .size:           4
        .value_kind:     by_value
    .group_segment_fixed_size: 2048
    .kernarg_segment_align: 8
    .kernarg_segment_size: 28
    .language:       OpenCL C
    .language_version:
      - 2
      - 0
    .max_flat_workgroup_size: 256
    .name:           _Z6kernelI26subtract_left_partial_tileLj256ELj1ELb1EJPfPiS1_jEEvDpT3_
    .private_segment_fixed_size: 0
    .sgpr_count:     14
    .sgpr_spill_count: 0
    .symbol:         _Z6kernelI26subtract_left_partial_tileLj256ELj1ELb1EJPfPiS1_jEEvDpT3_.kd
    .uniform_work_group_size: 1
    .uses_dynamic_stack: false
    .vgpr_count:     5
    .vgpr_spill_count: 0
    .wavefront_size: 32
    .workgroup_processor_mode: 1
  - .args:
      - .address_space:  global
        .offset:         0
        .size:           8
        .value_kind:     global_buffer
      - .address_space:  global
        .offset:         8
        .size:           8
        .value_kind:     global_buffer
      - .address_space:  global
        .offset:         16
        .size:           8
        .value_kind:     global_buffer
      - .offset:         24
        .size:           4
        .value_kind:     by_value
    .group_segment_fixed_size: 2048
    .kernarg_segment_align: 8
    .kernarg_segment_size: 28
    .language:       OpenCL C
    .language_version:
      - 2
      - 0
    .max_flat_workgroup_size: 256
    .name:           _Z6kernelI26subtract_left_partial_tileLj256ELj3ELb1EJPfPiS1_jEEvDpT3_
    .private_segment_fixed_size: 0
    .sgpr_count:     14
    .sgpr_spill_count: 0
    .symbol:         _Z6kernelI26subtract_left_partial_tileLj256ELj3ELb1EJPfPiS1_jEEvDpT3_.kd
    .uniform_work_group_size: 1
    .uses_dynamic_stack: false
    .vgpr_count:     12
    .vgpr_spill_count: 0
    .wavefront_size: 32
    .workgroup_processor_mode: 1
  - .args:
      - .address_space:  global
        .offset:         0
        .size:           8
        .value_kind:     global_buffer
      - .address_space:  global
        .offset:         8
        .size:           8
        .value_kind:     global_buffer
      - .address_space:  global
        .offset:         16
        .size:           8
        .value_kind:     global_buffer
      - .offset:         24
        .size:           4
        .value_kind:     by_value
    .group_segment_fixed_size: 2048
    .kernarg_segment_align: 8
    .kernarg_segment_size: 28
    .language:       OpenCL C
    .language_version:
      - 2
      - 0
    .max_flat_workgroup_size: 256
    .name:           _Z6kernelI26subtract_left_partial_tileLj256ELj4ELb1EJPfPiS1_jEEvDpT3_
    .private_segment_fixed_size: 0
    .sgpr_count:     14
    .sgpr_spill_count: 0
    .symbol:         _Z6kernelI26subtract_left_partial_tileLj256ELj4ELb1EJPfPiS1_jEEvDpT3_.kd
    .uniform_work_group_size: 1
    .uses_dynamic_stack: false
    .vgpr_count:     14
    .vgpr_spill_count: 0
    .wavefront_size: 32
    .workgroup_processor_mode: 1
  - .args:
      - .address_space:  global
        .offset:         0
        .size:           8
        .value_kind:     global_buffer
      - .address_space:  global
        .offset:         8
        .size:           8
        .value_kind:     global_buffer
      - .address_space:  global
        .offset:         16
        .size:           8
        .value_kind:     global_buffer
      - .offset:         24
        .size:           4
        .value_kind:     by_value
    .group_segment_fixed_size: 2048
    .kernarg_segment_align: 8
    .kernarg_segment_size: 28
    .language:       OpenCL C
    .language_version:
      - 2
      - 0
    .max_flat_workgroup_size: 256
    .name:           _Z6kernelI26subtract_left_partial_tileLj256ELj8ELb1EJPfPiS1_jEEvDpT3_
    .private_segment_fixed_size: 0
    .sgpr_count:     16
    .sgpr_spill_count: 0
    .symbol:         _Z6kernelI26subtract_left_partial_tileLj256ELj8ELb1EJPfPiS1_jEEvDpT3_.kd
    .uniform_work_group_size: 1
    .uses_dynamic_stack: false
    .vgpr_count:     27
    .vgpr_spill_count: 0
    .wavefront_size: 32
    .workgroup_processor_mode: 1
  - .args:
      - .address_space:  global
        .offset:         0
        .size:           8
        .value_kind:     global_buffer
      - .address_space:  global
        .offset:         8
        .size:           8
        .value_kind:     global_buffer
      - .address_space:  global
        .offset:         16
        .size:           8
        .value_kind:     global_buffer
      - .offset:         24
        .size:           4
        .value_kind:     by_value
    .group_segment_fixed_size: 2048
    .kernarg_segment_align: 8
    .kernarg_segment_size: 28
    .language:       OpenCL C
    .language_version:
      - 2
      - 0
    .max_flat_workgroup_size: 256
    .name:           _Z6kernelI26subtract_left_partial_tileLj256ELj16ELb1EJPfPiS1_jEEvDpT3_
    .private_segment_fixed_size: 0
    .sgpr_count:     14
    .sgpr_spill_count: 0
    .symbol:         _Z6kernelI26subtract_left_partial_tileLj256ELj16ELb1EJPfPiS1_jEEvDpT3_.kd
    .uniform_work_group_size: 1
    .uses_dynamic_stack: false
    .vgpr_count:     51
    .vgpr_spill_count: 0
    .wavefront_size: 32
    .workgroup_processor_mode: 1
  - .args:
      - .address_space:  global
        .offset:         0
        .size:           8
        .value_kind:     global_buffer
      - .address_space:  global
        .offset:         8
        .size:           8
        .value_kind:     global_buffer
      - .address_space:  global
        .offset:         16
        .size:           8
        .value_kind:     global_buffer
      - .offset:         24
        .size:           4
        .value_kind:     by_value
    .group_segment_fixed_size: 2048
    .kernarg_segment_align: 8
    .kernarg_segment_size: 28
    .language:       OpenCL C
    .language_version:
      - 2
      - 0
    .max_flat_workgroup_size: 256
    .name:           _Z6kernelI26subtract_left_partial_tileLj256ELj32ELb1EJPfPiS1_jEEvDpT3_
    .private_segment_fixed_size: 0
    .sgpr_count:     14
    .sgpr_spill_count: 0
    .symbol:         _Z6kernelI26subtract_left_partial_tileLj256ELj32ELb1EJPfPiS1_jEEvDpT3_.kd
    .uniform_work_group_size: 1
    .uses_dynamic_stack: false
    .vgpr_count:     95
    .vgpr_spill_count: 0
    .wavefront_size: 32
    .workgroup_processor_mode: 1
  - .args:
      - .address_space:  global
        .offset:         0
        .size:           8
        .value_kind:     global_buffer
      - .address_space:  global
        .offset:         8
        .size:           8
        .value_kind:     global_buffer
      - .address_space:  global
        .offset:         16
        .size:           8
        .value_kind:     global_buffer
      - .offset:         24
        .size:           4
        .value_kind:     by_value
    .group_segment_fixed_size: 512
    .kernarg_segment_align: 8
    .kernarg_segment_size: 28
    .language:       OpenCL C
    .language_version:
      - 2
      - 0
    .max_flat_workgroup_size: 256
    .name:           _Z6kernelI26subtract_left_partial_tileLj256ELj1ELb1EJPaPiS1_jEEvDpT3_
    .private_segment_fixed_size: 0
    .sgpr_count:     14
    .sgpr_spill_count: 0
    .symbol:         _Z6kernelI26subtract_left_partial_tileLj256ELj1ELb1EJPaPiS1_jEEvDpT3_.kd
    .uniform_work_group_size: 1
    .uses_dynamic_stack: false
    .vgpr_count:     4
    .vgpr_spill_count: 0
    .wavefront_size: 32
    .workgroup_processor_mode: 1
  - .args:
      - .address_space:  global
        .offset:         0
        .size:           8
        .value_kind:     global_buffer
      - .address_space:  global
        .offset:         8
        .size:           8
        .value_kind:     global_buffer
      - .address_space:  global
        .offset:         16
        .size:           8
        .value_kind:     global_buffer
      - .offset:         24
        .size:           4
        .value_kind:     by_value
    .group_segment_fixed_size: 512
    .kernarg_segment_align: 8
    .kernarg_segment_size: 28
    .language:       OpenCL C
    .language_version:
      - 2
      - 0
    .max_flat_workgroup_size: 256
    .name:           _Z6kernelI26subtract_left_partial_tileLj256ELj3ELb1EJPaPiS1_jEEvDpT3_
    .private_segment_fixed_size: 0
    .sgpr_count:     14
    .sgpr_spill_count: 0
    .symbol:         _Z6kernelI26subtract_left_partial_tileLj256ELj3ELb1EJPaPiS1_jEEvDpT3_.kd
    .uniform_work_group_size: 1
    .uses_dynamic_stack: false
    .vgpr_count:     13
    .vgpr_spill_count: 0
    .wavefront_size: 32
    .workgroup_processor_mode: 1
  - .args:
      - .address_space:  global
        .offset:         0
        .size:           8
        .value_kind:     global_buffer
      - .address_space:  global
        .offset:         8
        .size:           8
        .value_kind:     global_buffer
      - .address_space:  global
        .offset:         16
        .size:           8
        .value_kind:     global_buffer
      - .offset:         24
        .size:           4
        .value_kind:     by_value
    .group_segment_fixed_size: 512
    .kernarg_segment_align: 8
    .kernarg_segment_size: 28
    .language:       OpenCL C
    .language_version:
      - 2
      - 0
    .max_flat_workgroup_size: 256
    .name:           _Z6kernelI26subtract_left_partial_tileLj256ELj4ELb1EJPaPiS1_jEEvDpT3_
    .private_segment_fixed_size: 0
    .sgpr_count:     14
    .sgpr_spill_count: 0
    .symbol:         _Z6kernelI26subtract_left_partial_tileLj256ELj4ELb1EJPaPiS1_jEEvDpT3_.kd
    .uniform_work_group_size: 1
    .uses_dynamic_stack: false
    .vgpr_count:     16
    .vgpr_spill_count: 0
    .wavefront_size: 32
    .workgroup_processor_mode: 1
  - .args:
      - .address_space:  global
        .offset:         0
        .size:           8
        .value_kind:     global_buffer
      - .address_space:  global
        .offset:         8
        .size:           8
        .value_kind:     global_buffer
      - .address_space:  global
        .offset:         16
        .size:           8
        .value_kind:     global_buffer
      - .offset:         24
        .size:           4
        .value_kind:     by_value
    .group_segment_fixed_size: 512
    .kernarg_segment_align: 8
    .kernarg_segment_size: 28
    .language:       OpenCL C
    .language_version:
      - 2
      - 0
    .max_flat_workgroup_size: 256
    .name:           _Z6kernelI26subtract_left_partial_tileLj256ELj8ELb1EJPaPiS1_jEEvDpT3_
    .private_segment_fixed_size: 0
    .sgpr_count:     14
    .sgpr_spill_count: 0
    .symbol:         _Z6kernelI26subtract_left_partial_tileLj256ELj8ELb1EJPaPiS1_jEEvDpT3_.kd
    .uniform_work_group_size: 1
    .uses_dynamic_stack: false
    .vgpr_count:     30
    .vgpr_spill_count: 0
    .wavefront_size: 32
    .workgroup_processor_mode: 1
  - .args:
      - .address_space:  global
        .offset:         0
        .size:           8
        .value_kind:     global_buffer
      - .address_space:  global
        .offset:         8
        .size:           8
        .value_kind:     global_buffer
      - .address_space:  global
        .offset:         16
        .size:           8
        .value_kind:     global_buffer
      - .offset:         24
        .size:           4
        .value_kind:     by_value
    .group_segment_fixed_size: 512
    .kernarg_segment_align: 8
    .kernarg_segment_size: 28
    .language:       OpenCL C
    .language_version:
      - 2
      - 0
    .max_flat_workgroup_size: 256
    .name:           _Z6kernelI26subtract_left_partial_tileLj256ELj16ELb1EJPaPiS1_jEEvDpT3_
    .private_segment_fixed_size: 0
    .sgpr_count:     14
    .sgpr_spill_count: 0
    .symbol:         _Z6kernelI26subtract_left_partial_tileLj256ELj16ELb1EJPaPiS1_jEEvDpT3_.kd
    .uniform_work_group_size: 1
    .uses_dynamic_stack: false
    .vgpr_count:     57
    .vgpr_spill_count: 0
    .wavefront_size: 32
    .workgroup_processor_mode: 1
  - .args:
      - .address_space:  global
        .offset:         0
        .size:           8
        .value_kind:     global_buffer
      - .address_space:  global
        .offset:         8
        .size:           8
        .value_kind:     global_buffer
      - .address_space:  global
        .offset:         16
        .size:           8
        .value_kind:     global_buffer
      - .offset:         24
        .size:           4
        .value_kind:     by_value
    .group_segment_fixed_size: 512
    .kernarg_segment_align: 8
    .kernarg_segment_size: 28
    .language:       OpenCL C
    .language_version:
      - 2
      - 0
    .max_flat_workgroup_size: 256
    .name:           _Z6kernelI26subtract_left_partial_tileLj256ELj32ELb1EJPaPiS1_jEEvDpT3_
    .private_segment_fixed_size: 0
    .sgpr_count:     14
    .sgpr_spill_count: 0
    .symbol:         _Z6kernelI26subtract_left_partial_tileLj256ELj32ELb1EJPaPiS1_jEEvDpT3_.kd
    .uniform_work_group_size: 1
    .uses_dynamic_stack: false
    .vgpr_count:     92
    .vgpr_spill_count: 0
    .wavefront_size: 32
    .workgroup_processor_mode: 1
  - .args:
      - .address_space:  global
        .offset:         0
        .size:           8
        .value_kind:     global_buffer
      - .address_space:  global
        .offset:         8
        .size:           8
        .value_kind:     global_buffer
      - .address_space:  global
        .offset:         16
        .size:           8
        .value_kind:     global_buffer
      - .offset:         24
        .size:           4
        .value_kind:     by_value
    .group_segment_fixed_size: 4096
    .kernarg_segment_align: 8
    .kernarg_segment_size: 28
    .language:       OpenCL C
    .language_version:
      - 2
      - 0
    .max_flat_workgroup_size: 256
    .name:           _Z6kernelI26subtract_left_partial_tileLj256ELj1ELb1EJPxPiS1_jEEvDpT3_
    .private_segment_fixed_size: 0
    .sgpr_count:     14
    .sgpr_spill_count: 0
    .symbol:         _Z6kernelI26subtract_left_partial_tileLj256ELj1ELb1EJPxPiS1_jEEvDpT3_.kd
    .uniform_work_group_size: 1
    .uses_dynamic_stack: false
    .vgpr_count:     7
    .vgpr_spill_count: 0
    .wavefront_size: 32
    .workgroup_processor_mode: 1
  - .args:
      - .address_space:  global
        .offset:         0
        .size:           8
        .value_kind:     global_buffer
      - .address_space:  global
        .offset:         8
        .size:           8
        .value_kind:     global_buffer
      - .address_space:  global
        .offset:         16
        .size:           8
        .value_kind:     global_buffer
      - .offset:         24
        .size:           4
        .value_kind:     by_value
    .group_segment_fixed_size: 4096
    .kernarg_segment_align: 8
    .kernarg_segment_size: 28
    .language:       OpenCL C
    .language_version:
      - 2
      - 0
    .max_flat_workgroup_size: 256
    .name:           _Z6kernelI26subtract_left_partial_tileLj256ELj3ELb1EJPxPiS1_jEEvDpT3_
    .private_segment_fixed_size: 0
    .sgpr_count:     14
    .sgpr_spill_count: 0
    .symbol:         _Z6kernelI26subtract_left_partial_tileLj256ELj3ELb1EJPxPiS1_jEEvDpT3_.kd
    .uniform_work_group_size: 1
    .uses_dynamic_stack: false
    .vgpr_count:     18
    .vgpr_spill_count: 0
    .wavefront_size: 32
    .workgroup_processor_mode: 1
  - .args:
      - .address_space:  global
        .offset:         0
        .size:           8
        .value_kind:     global_buffer
      - .address_space:  global
        .offset:         8
        .size:           8
        .value_kind:     global_buffer
      - .address_space:  global
        .offset:         16
        .size:           8
        .value_kind:     global_buffer
      - .offset:         24
        .size:           4
        .value_kind:     by_value
    .group_segment_fixed_size: 4096
    .kernarg_segment_align: 8
    .kernarg_segment_size: 28
    .language:       OpenCL C
    .language_version:
      - 2
      - 0
    .max_flat_workgroup_size: 256
    .name:           _Z6kernelI26subtract_left_partial_tileLj256ELj4ELb1EJPxPiS1_jEEvDpT3_
    .private_segment_fixed_size: 0
    .sgpr_count:     14
    .sgpr_spill_count: 0
    .symbol:         _Z6kernelI26subtract_left_partial_tileLj256ELj4ELb1EJPxPiS1_jEEvDpT3_.kd
    .uniform_work_group_size: 1
    .uses_dynamic_stack: false
    .vgpr_count:     23
    .vgpr_spill_count: 0
    .wavefront_size: 32
    .workgroup_processor_mode: 1
  - .args:
      - .address_space:  global
        .offset:         0
        .size:           8
        .value_kind:     global_buffer
      - .address_space:  global
        .offset:         8
        .size:           8
        .value_kind:     global_buffer
      - .address_space:  global
        .offset:         16
        .size:           8
        .value_kind:     global_buffer
      - .offset:         24
        .size:           4
        .value_kind:     by_value
    .group_segment_fixed_size: 4096
    .kernarg_segment_align: 8
    .kernarg_segment_size: 28
    .language:       OpenCL C
    .language_version:
      - 2
      - 0
    .max_flat_workgroup_size: 256
    .name:           _Z6kernelI26subtract_left_partial_tileLj256ELj8ELb1EJPxPiS1_jEEvDpT3_
    .private_segment_fixed_size: 0
    .sgpr_count:     18
    .sgpr_spill_count: 0
    .symbol:         _Z6kernelI26subtract_left_partial_tileLj256ELj8ELb1EJPxPiS1_jEEvDpT3_.kd
    .uniform_work_group_size: 1
    .uses_dynamic_stack: false
    .vgpr_count:     42
    .vgpr_spill_count: 0
    .wavefront_size: 32
    .workgroup_processor_mode: 1
  - .args:
      - .address_space:  global
        .offset:         0
        .size:           8
        .value_kind:     global_buffer
      - .address_space:  global
        .offset:         8
        .size:           8
        .value_kind:     global_buffer
      - .address_space:  global
        .offset:         16
        .size:           8
        .value_kind:     global_buffer
      - .offset:         24
        .size:           4
        .value_kind:     by_value
    .group_segment_fixed_size: 4096
    .kernarg_segment_align: 8
    .kernarg_segment_size: 28
    .language:       OpenCL C
    .language_version:
      - 2
      - 0
    .max_flat_workgroup_size: 256
    .name:           _Z6kernelI26subtract_left_partial_tileLj256ELj16ELb1EJPxPiS1_jEEvDpT3_
    .private_segment_fixed_size: 0
    .sgpr_count:     16
    .sgpr_spill_count: 0
    .symbol:         _Z6kernelI26subtract_left_partial_tileLj256ELj16ELb1EJPxPiS1_jEEvDpT3_.kd
    .uniform_work_group_size: 1
    .uses_dynamic_stack: false
    .vgpr_count:     83
    .vgpr_spill_count: 0
    .wavefront_size: 32
    .workgroup_processor_mode: 1
  - .args:
      - .address_space:  global
        .offset:         0
        .size:           8
        .value_kind:     global_buffer
      - .address_space:  global
        .offset:         8
        .size:           8
        .value_kind:     global_buffer
      - .address_space:  global
        .offset:         16
        .size:           8
        .value_kind:     global_buffer
      - .offset:         24
        .size:           4
        .value_kind:     by_value
    .group_segment_fixed_size: 4096
    .kernarg_segment_align: 8
    .kernarg_segment_size: 28
    .language:       OpenCL C
    .language_version:
      - 2
      - 0
    .max_flat_workgroup_size: 256
    .name:           _Z6kernelI26subtract_left_partial_tileLj256ELj32ELb1EJPxPiS1_jEEvDpT3_
    .private_segment_fixed_size: 0
    .sgpr_count:     16
    .sgpr_spill_count: 0
    .symbol:         _Z6kernelI26subtract_left_partial_tileLj256ELj32ELb1EJPxPiS1_jEEvDpT3_.kd
    .uniform_work_group_size: 1
    .uses_dynamic_stack: false
    .vgpr_count:     95
    .vgpr_spill_count: 0
    .wavefront_size: 32
    .workgroup_processor_mode: 1
  - .args:
      - .address_space:  global
        .offset:         0
        .size:           8
        .value_kind:     global_buffer
      - .address_space:  global
        .offset:         8
        .size:           8
        .value_kind:     global_buffer
      - .address_space:  global
        .offset:         16
        .size:           8
        .value_kind:     global_buffer
      - .offset:         24
        .size:           4
        .value_kind:     by_value
    .group_segment_fixed_size: 4096
    .kernarg_segment_align: 8
    .kernarg_segment_size: 28
    .language:       OpenCL C
    .language_version:
      - 2
      - 0
    .max_flat_workgroup_size: 256
    .name:           _Z6kernelI26subtract_left_partial_tileLj256ELj1ELb1EJPdPiS1_jEEvDpT3_
    .private_segment_fixed_size: 0
    .sgpr_count:     14
    .sgpr_spill_count: 0
    .symbol:         _Z6kernelI26subtract_left_partial_tileLj256ELj1ELb1EJPdPiS1_jEEvDpT3_.kd
    .uniform_work_group_size: 1
    .uses_dynamic_stack: false
    .vgpr_count:     7
    .vgpr_spill_count: 0
    .wavefront_size: 32
    .workgroup_processor_mode: 1
  - .args:
      - .address_space:  global
        .offset:         0
        .size:           8
        .value_kind:     global_buffer
      - .address_space:  global
        .offset:         8
        .size:           8
        .value_kind:     global_buffer
      - .address_space:  global
        .offset:         16
        .size:           8
        .value_kind:     global_buffer
      - .offset:         24
        .size:           4
        .value_kind:     by_value
    .group_segment_fixed_size: 4096
    .kernarg_segment_align: 8
    .kernarg_segment_size: 28
    .language:       OpenCL C
    .language_version:
      - 2
      - 0
    .max_flat_workgroup_size: 256
    .name:           _Z6kernelI26subtract_left_partial_tileLj256ELj3ELb1EJPdPiS1_jEEvDpT3_
    .private_segment_fixed_size: 0
    .sgpr_count:     18
    .sgpr_spill_count: 0
    .symbol:         _Z6kernelI26subtract_left_partial_tileLj256ELj3ELb1EJPdPiS1_jEEvDpT3_.kd
    .uniform_work_group_size: 1
    .uses_dynamic_stack: false
    .vgpr_count:     18
    .vgpr_spill_count: 0
    .wavefront_size: 32
    .workgroup_processor_mode: 1
  - .args:
      - .address_space:  global
        .offset:         0
        .size:           8
        .value_kind:     global_buffer
      - .address_space:  global
        .offset:         8
        .size:           8
        .value_kind:     global_buffer
      - .address_space:  global
        .offset:         16
        .size:           8
        .value_kind:     global_buffer
      - .offset:         24
        .size:           4
        .value_kind:     by_value
    .group_segment_fixed_size: 4096
    .kernarg_segment_align: 8
    .kernarg_segment_size: 28
    .language:       OpenCL C
    .language_version:
      - 2
      - 0
    .max_flat_workgroup_size: 256
    .name:           _Z6kernelI26subtract_left_partial_tileLj256ELj4ELb1EJPdPiS1_jEEvDpT3_
    .private_segment_fixed_size: 0
    .sgpr_count:     18
    .sgpr_spill_count: 0
    .symbol:         _Z6kernelI26subtract_left_partial_tileLj256ELj4ELb1EJPdPiS1_jEEvDpT3_.kd
    .uniform_work_group_size: 1
    .uses_dynamic_stack: false
    .vgpr_count:     23
    .vgpr_spill_count: 0
    .wavefront_size: 32
    .workgroup_processor_mode: 1
  - .args:
      - .address_space:  global
        .offset:         0
        .size:           8
        .value_kind:     global_buffer
      - .address_space:  global
        .offset:         8
        .size:           8
        .value_kind:     global_buffer
      - .address_space:  global
        .offset:         16
        .size:           8
        .value_kind:     global_buffer
      - .offset:         24
        .size:           4
        .value_kind:     by_value
    .group_segment_fixed_size: 4096
    .kernarg_segment_align: 8
    .kernarg_segment_size: 28
    .language:       OpenCL C
    .language_version:
      - 2
      - 0
    .max_flat_workgroup_size: 256
    .name:           _Z6kernelI26subtract_left_partial_tileLj256ELj8ELb1EJPdPiS1_jEEvDpT3_
    .private_segment_fixed_size: 0
    .sgpr_count:     18
    .sgpr_spill_count: 0
    .symbol:         _Z6kernelI26subtract_left_partial_tileLj256ELj8ELb1EJPdPiS1_jEEvDpT3_.kd
    .uniform_work_group_size: 1
    .uses_dynamic_stack: false
    .vgpr_count:     42
    .vgpr_spill_count: 0
    .wavefront_size: 32
    .workgroup_processor_mode: 1
  - .args:
      - .address_space:  global
        .offset:         0
        .size:           8
        .value_kind:     global_buffer
      - .address_space:  global
        .offset:         8
        .size:           8
        .value_kind:     global_buffer
      - .address_space:  global
        .offset:         16
        .size:           8
        .value_kind:     global_buffer
      - .offset:         24
        .size:           4
        .value_kind:     by_value
    .group_segment_fixed_size: 4096
    .kernarg_segment_align: 8
    .kernarg_segment_size: 28
    .language:       OpenCL C
    .language_version:
      - 2
      - 0
    .max_flat_workgroup_size: 256
    .name:           _Z6kernelI26subtract_left_partial_tileLj256ELj16ELb1EJPdPiS1_jEEvDpT3_
    .private_segment_fixed_size: 0
    .sgpr_count:     17
    .sgpr_spill_count: 0
    .symbol:         _Z6kernelI26subtract_left_partial_tileLj256ELj16ELb1EJPdPiS1_jEEvDpT3_.kd
    .uniform_work_group_size: 1
    .uses_dynamic_stack: false
    .vgpr_count:     83
    .vgpr_spill_count: 0
    .wavefront_size: 32
    .workgroup_processor_mode: 1
  - .args:
      - .address_space:  global
        .offset:         0
        .size:           8
        .value_kind:     global_buffer
      - .address_space:  global
        .offset:         8
        .size:           8
        .value_kind:     global_buffer
      - .address_space:  global
        .offset:         16
        .size:           8
        .value_kind:     global_buffer
      - .offset:         24
        .size:           4
        .value_kind:     by_value
    .group_segment_fixed_size: 4096
    .kernarg_segment_align: 8
    .kernarg_segment_size: 28
    .language:       OpenCL C
    .language_version:
      - 2
      - 0
    .max_flat_workgroup_size: 256
    .name:           _Z6kernelI26subtract_left_partial_tileLj256ELj32ELb1EJPdPiS1_jEEvDpT3_
    .private_segment_fixed_size: 0
    .sgpr_count:     18
    .sgpr_spill_count: 0
    .symbol:         _Z6kernelI26subtract_left_partial_tileLj256ELj32ELb1EJPdPiS1_jEEvDpT3_.kd
    .uniform_work_group_size: 1
    .uses_dynamic_stack: false
    .vgpr_count:     143
    .vgpr_spill_count: 0
    .wavefront_size: 32
    .workgroup_processor_mode: 1
  - .args:
      - .address_space:  global
        .offset:         0
        .size:           8
        .value_kind:     global_buffer
      - .address_space:  global
        .offset:         8
        .size:           8
        .value_kind:     global_buffer
      - .address_space:  global
        .offset:         16
        .size:           8
        .value_kind:     global_buffer
      - .offset:         24
        .size:           4
        .value_kind:     by_value
    .group_segment_fixed_size: 2048
    .kernarg_segment_align: 8
    .kernarg_segment_size: 28
    .language:       OpenCL C
    .language_version:
      - 2
      - 0
    .max_flat_workgroup_size: 256
    .name:           _Z6kernelI27subtract_right_partial_tileLj256ELj1ELb0EJPiS1_S1_jEEvDpT3_
    .private_segment_fixed_size: 0
    .sgpr_count:     12
    .sgpr_spill_count: 0
    .symbol:         _Z6kernelI27subtract_right_partial_tileLj256ELj1ELb0EJPiS1_S1_jEEvDpT3_.kd
    .uniform_work_group_size: 1
    .uses_dynamic_stack: false
    .vgpr_count:     5
    .vgpr_spill_count: 0
    .wavefront_size: 32
    .workgroup_processor_mode: 1
  - .args:
      - .address_space:  global
        .offset:         0
        .size:           8
        .value_kind:     global_buffer
      - .address_space:  global
        .offset:         8
        .size:           8
        .value_kind:     global_buffer
      - .address_space:  global
        .offset:         16
        .size:           8
        .value_kind:     global_buffer
      - .offset:         24
        .size:           4
        .value_kind:     by_value
    .group_segment_fixed_size: 2048
    .kernarg_segment_align: 8
    .kernarg_segment_size: 28
    .language:       OpenCL C
    .language_version:
      - 2
      - 0
    .max_flat_workgroup_size: 256
    .name:           _Z6kernelI27subtract_right_partial_tileLj256ELj3ELb0EJPiS1_S1_jEEvDpT3_
    .private_segment_fixed_size: 0
    .sgpr_count:     14
    .sgpr_spill_count: 0
    .symbol:         _Z6kernelI27subtract_right_partial_tileLj256ELj3ELb0EJPiS1_S1_jEEvDpT3_.kd
    .uniform_work_group_size: 1
    .uses_dynamic_stack: false
    .vgpr_count:     11
    .vgpr_spill_count: 0
    .wavefront_size: 32
    .workgroup_processor_mode: 1
  - .args:
      - .address_space:  global
        .offset:         0
        .size:           8
        .value_kind:     global_buffer
      - .address_space:  global
        .offset:         8
        .size:           8
        .value_kind:     global_buffer
      - .address_space:  global
        .offset:         16
        .size:           8
        .value_kind:     global_buffer
      - .offset:         24
        .size:           4
        .value_kind:     by_value
    .group_segment_fixed_size: 2048
    .kernarg_segment_align: 8
    .kernarg_segment_size: 28
    .language:       OpenCL C
    .language_version:
      - 2
      - 0
    .max_flat_workgroup_size: 256
    .name:           _Z6kernelI27subtract_right_partial_tileLj256ELj4ELb0EJPiS1_S1_jEEvDpT3_
    .private_segment_fixed_size: 0
    .sgpr_count:     14
    .sgpr_spill_count: 0
    .symbol:         _Z6kernelI27subtract_right_partial_tileLj256ELj4ELb0EJPiS1_S1_jEEvDpT3_.kd
    .uniform_work_group_size: 1
    .uses_dynamic_stack: false
    .vgpr_count:     14
    .vgpr_spill_count: 0
    .wavefront_size: 32
    .workgroup_processor_mode: 1
  - .args:
      - .address_space:  global
        .offset:         0
        .size:           8
        .value_kind:     global_buffer
      - .address_space:  global
        .offset:         8
        .size:           8
        .value_kind:     global_buffer
      - .address_space:  global
        .offset:         16
        .size:           8
        .value_kind:     global_buffer
      - .offset:         24
        .size:           4
        .value_kind:     by_value
    .group_segment_fixed_size: 2048
    .kernarg_segment_align: 8
    .kernarg_segment_size: 28
    .language:       OpenCL C
    .language_version:
      - 2
      - 0
    .max_flat_workgroup_size: 256
    .name:           _Z6kernelI27subtract_right_partial_tileLj256ELj8ELb0EJPiS1_S1_jEEvDpT3_
    .private_segment_fixed_size: 0
    .sgpr_count:     14
    .sgpr_spill_count: 0
    .symbol:         _Z6kernelI27subtract_right_partial_tileLj256ELj8ELb0EJPiS1_S1_jEEvDpT3_.kd
    .uniform_work_group_size: 1
    .uses_dynamic_stack: false
    .vgpr_count:     26
    .vgpr_spill_count: 0
    .wavefront_size: 32
    .workgroup_processor_mode: 1
  - .args:
      - .address_space:  global
        .offset:         0
        .size:           8
        .value_kind:     global_buffer
      - .address_space:  global
        .offset:         8
        .size:           8
        .value_kind:     global_buffer
      - .address_space:  global
        .offset:         16
        .size:           8
        .value_kind:     global_buffer
      - .offset:         24
        .size:           4
        .value_kind:     by_value
    .group_segment_fixed_size: 2048
    .kernarg_segment_align: 8
    .kernarg_segment_size: 28
    .language:       OpenCL C
    .language_version:
      - 2
      - 0
    .max_flat_workgroup_size: 256
    .name:           _Z6kernelI27subtract_right_partial_tileLj256ELj16ELb0EJPiS1_S1_jEEvDpT3_
    .private_segment_fixed_size: 0
    .sgpr_count:     14
    .sgpr_spill_count: 0
    .symbol:         _Z6kernelI27subtract_right_partial_tileLj256ELj16ELb0EJPiS1_S1_jEEvDpT3_.kd
    .uniform_work_group_size: 1
    .uses_dynamic_stack: false
    .vgpr_count:     50
    .vgpr_spill_count: 0
    .wavefront_size: 32
    .workgroup_processor_mode: 1
  - .args:
      - .address_space:  global
        .offset:         0
        .size:           8
        .value_kind:     global_buffer
      - .address_space:  global
        .offset:         8
        .size:           8
        .value_kind:     global_buffer
      - .address_space:  global
        .offset:         16
        .size:           8
        .value_kind:     global_buffer
      - .offset:         24
        .size:           4
        .value_kind:     by_value
    .group_segment_fixed_size: 2048
    .kernarg_segment_align: 8
    .kernarg_segment_size: 28
    .language:       OpenCL C
    .language_version:
      - 2
      - 0
    .max_flat_workgroup_size: 256
    .name:           _Z6kernelI27subtract_right_partial_tileLj256ELj32ELb0EJPiS1_S1_jEEvDpT3_
    .private_segment_fixed_size: 0
    .sgpr_count:     14
    .sgpr_spill_count: 0
    .symbol:         _Z6kernelI27subtract_right_partial_tileLj256ELj32ELb0EJPiS1_S1_jEEvDpT3_.kd
    .uniform_work_group_size: 1
    .uses_dynamic_stack: false
    .vgpr_count:     95
    .vgpr_spill_count: 0
    .wavefront_size: 32
    .workgroup_processor_mode: 1
  - .args:
      - .address_space:  global
        .offset:         0
        .size:           8
        .value_kind:     global_buffer
      - .address_space:  global
        .offset:         8
        .size:           8
        .value_kind:     global_buffer
      - .address_space:  global
        .offset:         16
        .size:           8
        .value_kind:     global_buffer
      - .offset:         24
        .size:           4
        .value_kind:     by_value
    .group_segment_fixed_size: 2048
    .kernarg_segment_align: 8
    .kernarg_segment_size: 28
    .language:       OpenCL C
    .language_version:
      - 2
      - 0
    .max_flat_workgroup_size: 256
    .name:           _Z6kernelI27subtract_right_partial_tileLj256ELj1ELb0EJPfPiS1_jEEvDpT3_
    .private_segment_fixed_size: 0
    .sgpr_count:     12
    .sgpr_spill_count: 0
    .symbol:         _Z6kernelI27subtract_right_partial_tileLj256ELj1ELb0EJPfPiS1_jEEvDpT3_.kd
    .uniform_work_group_size: 1
    .uses_dynamic_stack: false
    .vgpr_count:     5
    .vgpr_spill_count: 0
    .wavefront_size: 32
    .workgroup_processor_mode: 1
  - .args:
      - .address_space:  global
        .offset:         0
        .size:           8
        .value_kind:     global_buffer
      - .address_space:  global
        .offset:         8
        .size:           8
        .value_kind:     global_buffer
      - .address_space:  global
        .offset:         16
        .size:           8
        .value_kind:     global_buffer
      - .offset:         24
        .size:           4
        .value_kind:     by_value
    .group_segment_fixed_size: 2048
    .kernarg_segment_align: 8
    .kernarg_segment_size: 28
    .language:       OpenCL C
    .language_version:
      - 2
      - 0
    .max_flat_workgroup_size: 256
    .name:           _Z6kernelI27subtract_right_partial_tileLj256ELj3ELb0EJPfPiS1_jEEvDpT3_
    .private_segment_fixed_size: 0
    .sgpr_count:     14
    .sgpr_spill_count: 0
    .symbol:         _Z6kernelI27subtract_right_partial_tileLj256ELj3ELb0EJPfPiS1_jEEvDpT3_.kd
    .uniform_work_group_size: 1
    .uses_dynamic_stack: false
    .vgpr_count:     11
    .vgpr_spill_count: 0
    .wavefront_size: 32
    .workgroup_processor_mode: 1
  - .args:
      - .address_space:  global
        .offset:         0
        .size:           8
        .value_kind:     global_buffer
      - .address_space:  global
        .offset:         8
        .size:           8
        .value_kind:     global_buffer
      - .address_space:  global
        .offset:         16
        .size:           8
        .value_kind:     global_buffer
      - .offset:         24
        .size:           4
        .value_kind:     by_value
    .group_segment_fixed_size: 2048
    .kernarg_segment_align: 8
    .kernarg_segment_size: 28
    .language:       OpenCL C
    .language_version:
      - 2
      - 0
    .max_flat_workgroup_size: 256
    .name:           _Z6kernelI27subtract_right_partial_tileLj256ELj4ELb0EJPfPiS1_jEEvDpT3_
    .private_segment_fixed_size: 0
    .sgpr_count:     14
    .sgpr_spill_count: 0
    .symbol:         _Z6kernelI27subtract_right_partial_tileLj256ELj4ELb0EJPfPiS1_jEEvDpT3_.kd
    .uniform_work_group_size: 1
    .uses_dynamic_stack: false
    .vgpr_count:     14
    .vgpr_spill_count: 0
    .wavefront_size: 32
    .workgroup_processor_mode: 1
  - .args:
      - .address_space:  global
        .offset:         0
        .size:           8
        .value_kind:     global_buffer
      - .address_space:  global
        .offset:         8
        .size:           8
        .value_kind:     global_buffer
      - .address_space:  global
        .offset:         16
        .size:           8
        .value_kind:     global_buffer
      - .offset:         24
        .size:           4
        .value_kind:     by_value
    .group_segment_fixed_size: 2048
    .kernarg_segment_align: 8
    .kernarg_segment_size: 28
    .language:       OpenCL C
    .language_version:
      - 2
      - 0
    .max_flat_workgroup_size: 256
    .name:           _Z6kernelI27subtract_right_partial_tileLj256ELj8ELb0EJPfPiS1_jEEvDpT3_
    .private_segment_fixed_size: 0
    .sgpr_count:     14
    .sgpr_spill_count: 0
    .symbol:         _Z6kernelI27subtract_right_partial_tileLj256ELj8ELb0EJPfPiS1_jEEvDpT3_.kd
    .uniform_work_group_size: 1
    .uses_dynamic_stack: false
    .vgpr_count:     26
    .vgpr_spill_count: 0
    .wavefront_size: 32
    .workgroup_processor_mode: 1
  - .args:
      - .address_space:  global
        .offset:         0
        .size:           8
        .value_kind:     global_buffer
      - .address_space:  global
        .offset:         8
        .size:           8
        .value_kind:     global_buffer
      - .address_space:  global
        .offset:         16
        .size:           8
        .value_kind:     global_buffer
      - .offset:         24
        .size:           4
        .value_kind:     by_value
    .group_segment_fixed_size: 2048
    .kernarg_segment_align: 8
    .kernarg_segment_size: 28
    .language:       OpenCL C
    .language_version:
      - 2
      - 0
    .max_flat_workgroup_size: 256
    .name:           _Z6kernelI27subtract_right_partial_tileLj256ELj16ELb0EJPfPiS1_jEEvDpT3_
    .private_segment_fixed_size: 0
    .sgpr_count:     14
    .sgpr_spill_count: 0
    .symbol:         _Z6kernelI27subtract_right_partial_tileLj256ELj16ELb0EJPfPiS1_jEEvDpT3_.kd
    .uniform_work_group_size: 1
    .uses_dynamic_stack: false
    .vgpr_count:     50
    .vgpr_spill_count: 0
    .wavefront_size: 32
    .workgroup_processor_mode: 1
  - .args:
      - .address_space:  global
        .offset:         0
        .size:           8
        .value_kind:     global_buffer
      - .address_space:  global
        .offset:         8
        .size:           8
        .value_kind:     global_buffer
      - .address_space:  global
        .offset:         16
        .size:           8
        .value_kind:     global_buffer
      - .offset:         24
        .size:           4
        .value_kind:     by_value
    .group_segment_fixed_size: 2048
    .kernarg_segment_align: 8
    .kernarg_segment_size: 28
    .language:       OpenCL C
    .language_version:
      - 2
      - 0
    .max_flat_workgroup_size: 256
    .name:           _Z6kernelI27subtract_right_partial_tileLj256ELj32ELb0EJPfPiS1_jEEvDpT3_
    .private_segment_fixed_size: 0
    .sgpr_count:     14
    .sgpr_spill_count: 0
    .symbol:         _Z6kernelI27subtract_right_partial_tileLj256ELj32ELb0EJPfPiS1_jEEvDpT3_.kd
    .uniform_work_group_size: 1
    .uses_dynamic_stack: false
    .vgpr_count:     95
    .vgpr_spill_count: 0
    .wavefront_size: 32
    .workgroup_processor_mode: 1
  - .args:
      - .address_space:  global
        .offset:         0
        .size:           8
        .value_kind:     global_buffer
      - .address_space:  global
        .offset:         8
        .size:           8
        .value_kind:     global_buffer
      - .address_space:  global
        .offset:         16
        .size:           8
        .value_kind:     global_buffer
      - .offset:         24
        .size:           4
        .value_kind:     by_value
    .group_segment_fixed_size: 512
    .kernarg_segment_align: 8
    .kernarg_segment_size: 28
    .language:       OpenCL C
    .language_version:
      - 2
      - 0
    .max_flat_workgroup_size: 256
    .name:           _Z6kernelI27subtract_right_partial_tileLj256ELj1ELb0EJPaPiS1_jEEvDpT3_
    .private_segment_fixed_size: 0
    .sgpr_count:     12
    .sgpr_spill_count: 0
    .symbol:         _Z6kernelI27subtract_right_partial_tileLj256ELj1ELb0EJPaPiS1_jEEvDpT3_.kd
    .uniform_work_group_size: 1
    .uses_dynamic_stack: false
    .vgpr_count:     4
    .vgpr_spill_count: 0
    .wavefront_size: 32
    .workgroup_processor_mode: 1
  - .args:
      - .address_space:  global
        .offset:         0
        .size:           8
        .value_kind:     global_buffer
      - .address_space:  global
        .offset:         8
        .size:           8
        .value_kind:     global_buffer
      - .address_space:  global
        .offset:         16
        .size:           8
        .value_kind:     global_buffer
      - .offset:         24
        .size:           4
        .value_kind:     by_value
    .group_segment_fixed_size: 512
    .kernarg_segment_align: 8
    .kernarg_segment_size: 28
    .language:       OpenCL C
    .language_version:
      - 2
      - 0
    .max_flat_workgroup_size: 256
    .name:           _Z6kernelI27subtract_right_partial_tileLj256ELj3ELb0EJPaPiS1_jEEvDpT3_
    .private_segment_fixed_size: 0
    .sgpr_count:     14
    .sgpr_spill_count: 0
    .symbol:         _Z6kernelI27subtract_right_partial_tileLj256ELj3ELb0EJPaPiS1_jEEvDpT3_.kd
    .uniform_work_group_size: 1
    .uses_dynamic_stack: false
    .vgpr_count:     11
    .vgpr_spill_count: 0
    .wavefront_size: 32
    .workgroup_processor_mode: 1
  - .args:
      - .address_space:  global
        .offset:         0
        .size:           8
        .value_kind:     global_buffer
      - .address_space:  global
        .offset:         8
        .size:           8
        .value_kind:     global_buffer
      - .address_space:  global
        .offset:         16
        .size:           8
        .value_kind:     global_buffer
      - .offset:         24
        .size:           4
        .value_kind:     by_value
    .group_segment_fixed_size: 512
    .kernarg_segment_align: 8
    .kernarg_segment_size: 28
    .language:       OpenCL C
    .language_version:
      - 2
      - 0
    .max_flat_workgroup_size: 256
    .name:           _Z6kernelI27subtract_right_partial_tileLj256ELj4ELb0EJPaPiS1_jEEvDpT3_
    .private_segment_fixed_size: 0
    .sgpr_count:     14
    .sgpr_spill_count: 0
    .symbol:         _Z6kernelI27subtract_right_partial_tileLj256ELj4ELb0EJPaPiS1_jEEvDpT3_.kd
    .uniform_work_group_size: 1
    .uses_dynamic_stack: false
    .vgpr_count:     13
    .vgpr_spill_count: 0
    .wavefront_size: 32
    .workgroup_processor_mode: 1
  - .args:
      - .address_space:  global
        .offset:         0
        .size:           8
        .value_kind:     global_buffer
      - .address_space:  global
        .offset:         8
        .size:           8
        .value_kind:     global_buffer
      - .address_space:  global
        .offset:         16
        .size:           8
        .value_kind:     global_buffer
      - .offset:         24
        .size:           4
        .value_kind:     by_value
    .group_segment_fixed_size: 512
    .kernarg_segment_align: 8
    .kernarg_segment_size: 28
    .language:       OpenCL C
    .language_version:
      - 2
      - 0
    .max_flat_workgroup_size: 256
    .name:           _Z6kernelI27subtract_right_partial_tileLj256ELj8ELb0EJPaPiS1_jEEvDpT3_
    .private_segment_fixed_size: 0
    .sgpr_count:     14
    .sgpr_spill_count: 0
    .symbol:         _Z6kernelI27subtract_right_partial_tileLj256ELj8ELb0EJPaPiS1_jEEvDpT3_.kd
    .uniform_work_group_size: 1
    .uses_dynamic_stack: false
    .vgpr_count:     24
    .vgpr_spill_count: 0
    .wavefront_size: 32
    .workgroup_processor_mode: 1
  - .args:
      - .address_space:  global
        .offset:         0
        .size:           8
        .value_kind:     global_buffer
      - .address_space:  global
        .offset:         8
        .size:           8
        .value_kind:     global_buffer
      - .address_space:  global
        .offset:         16
        .size:           8
        .value_kind:     global_buffer
      - .offset:         24
        .size:           4
        .value_kind:     by_value
    .group_segment_fixed_size: 512
    .kernarg_segment_align: 8
    .kernarg_segment_size: 28
    .language:       OpenCL C
    .language_version:
      - 2
      - 0
    .max_flat_workgroup_size: 256
    .name:           _Z6kernelI27subtract_right_partial_tileLj256ELj16ELb0EJPaPiS1_jEEvDpT3_
    .private_segment_fixed_size: 0
    .sgpr_count:     14
    .sgpr_spill_count: 0
    .symbol:         _Z6kernelI27subtract_right_partial_tileLj256ELj16ELb0EJPaPiS1_jEEvDpT3_.kd
    .uniform_work_group_size: 1
    .uses_dynamic_stack: false
    .vgpr_count:     46
    .vgpr_spill_count: 0
    .wavefront_size: 32
    .workgroup_processor_mode: 1
  - .args:
      - .address_space:  global
        .offset:         0
        .size:           8
        .value_kind:     global_buffer
      - .address_space:  global
        .offset:         8
        .size:           8
        .value_kind:     global_buffer
      - .address_space:  global
        .offset:         16
        .size:           8
        .value_kind:     global_buffer
      - .offset:         24
        .size:           4
        .value_kind:     by_value
    .group_segment_fixed_size: 512
    .kernarg_segment_align: 8
    .kernarg_segment_size: 28
    .language:       OpenCL C
    .language_version:
      - 2
      - 0
    .max_flat_workgroup_size: 256
    .name:           _Z6kernelI27subtract_right_partial_tileLj256ELj32ELb0EJPaPiS1_jEEvDpT3_
    .private_segment_fixed_size: 0
    .sgpr_count:     14
    .sgpr_spill_count: 0
    .symbol:         _Z6kernelI27subtract_right_partial_tileLj256ELj32ELb0EJPaPiS1_jEEvDpT3_.kd
    .uniform_work_group_size: 1
    .uses_dynamic_stack: false
    .vgpr_count:     95
    .vgpr_spill_count: 0
    .wavefront_size: 32
    .workgroup_processor_mode: 1
  - .args:
      - .address_space:  global
        .offset:         0
        .size:           8
        .value_kind:     global_buffer
      - .address_space:  global
        .offset:         8
        .size:           8
        .value_kind:     global_buffer
      - .address_space:  global
        .offset:         16
        .size:           8
        .value_kind:     global_buffer
      - .offset:         24
        .size:           4
        .value_kind:     by_value
    .group_segment_fixed_size: 4096
    .kernarg_segment_align: 8
    .kernarg_segment_size: 28
    .language:       OpenCL C
    .language_version:
      - 2
      - 0
    .max_flat_workgroup_size: 256
    .name:           _Z6kernelI27subtract_right_partial_tileLj256ELj1ELb0EJPxPiS1_jEEvDpT3_
    .private_segment_fixed_size: 0
    .sgpr_count:     14
    .sgpr_spill_count: 0
    .symbol:         _Z6kernelI27subtract_right_partial_tileLj256ELj1ELb0EJPxPiS1_jEEvDpT3_.kd
    .uniform_work_group_size: 1
    .uses_dynamic_stack: false
    .vgpr_count:     7
    .vgpr_spill_count: 0
    .wavefront_size: 32
    .workgroup_processor_mode: 1
  - .args:
      - .address_space:  global
        .offset:         0
        .size:           8
        .value_kind:     global_buffer
      - .address_space:  global
        .offset:         8
        .size:           8
        .value_kind:     global_buffer
      - .address_space:  global
        .offset:         16
        .size:           8
        .value_kind:     global_buffer
      - .offset:         24
        .size:           4
        .value_kind:     by_value
    .group_segment_fixed_size: 4096
    .kernarg_segment_align: 8
    .kernarg_segment_size: 28
    .language:       OpenCL C
    .language_version:
      - 2
      - 0
    .max_flat_workgroup_size: 256
    .name:           _Z6kernelI27subtract_right_partial_tileLj256ELj3ELb0EJPxPiS1_jEEvDpT3_
    .private_segment_fixed_size: 0
    .sgpr_count:     14
    .sgpr_spill_count: 0
    .symbol:         _Z6kernelI27subtract_right_partial_tileLj256ELj3ELb0EJPxPiS1_jEEvDpT3_.kd
    .uniform_work_group_size: 1
    .uses_dynamic_stack: false
    .vgpr_count:     17
    .vgpr_spill_count: 0
    .wavefront_size: 32
    .workgroup_processor_mode: 1
  - .args:
      - .address_space:  global
        .offset:         0
        .size:           8
        .value_kind:     global_buffer
      - .address_space:  global
        .offset:         8
        .size:           8
        .value_kind:     global_buffer
      - .address_space:  global
        .offset:         16
        .size:           8
        .value_kind:     global_buffer
      - .offset:         24
        .size:           4
        .value_kind:     by_value
    .group_segment_fixed_size: 4096
    .kernarg_segment_align: 8
    .kernarg_segment_size: 28
    .language:       OpenCL C
    .language_version:
      - 2
      - 0
    .max_flat_workgroup_size: 256
    .name:           _Z6kernelI27subtract_right_partial_tileLj256ELj4ELb0EJPxPiS1_jEEvDpT3_
    .private_segment_fixed_size: 0
    .sgpr_count:     14
    .sgpr_spill_count: 0
    .symbol:         _Z6kernelI27subtract_right_partial_tileLj256ELj4ELb0EJPxPiS1_jEEvDpT3_.kd
    .uniform_work_group_size: 1
    .uses_dynamic_stack: false
    .vgpr_count:     22
    .vgpr_spill_count: 0
    .wavefront_size: 32
    .workgroup_processor_mode: 1
  - .args:
      - .address_space:  global
        .offset:         0
        .size:           8
        .value_kind:     global_buffer
      - .address_space:  global
        .offset:         8
        .size:           8
        .value_kind:     global_buffer
      - .address_space:  global
        .offset:         16
        .size:           8
        .value_kind:     global_buffer
      - .offset:         24
        .size:           4
        .value_kind:     by_value
    .group_segment_fixed_size: 4096
    .kernarg_segment_align: 8
    .kernarg_segment_size: 28
    .language:       OpenCL C
    .language_version:
      - 2
      - 0
    .max_flat_workgroup_size: 256
    .name:           _Z6kernelI27subtract_right_partial_tileLj256ELj8ELb0EJPxPiS1_jEEvDpT3_
    .private_segment_fixed_size: 0
    .sgpr_count:     14
    .sgpr_spill_count: 0
    .symbol:         _Z6kernelI27subtract_right_partial_tileLj256ELj8ELb0EJPxPiS1_jEEvDpT3_.kd
    .uniform_work_group_size: 1
    .uses_dynamic_stack: false
    .vgpr_count:     42
    .vgpr_spill_count: 0
    .wavefront_size: 32
    .workgroup_processor_mode: 1
  - .args:
      - .address_space:  global
        .offset:         0
        .size:           8
        .value_kind:     global_buffer
      - .address_space:  global
        .offset:         8
        .size:           8
        .value_kind:     global_buffer
      - .address_space:  global
        .offset:         16
        .size:           8
        .value_kind:     global_buffer
      - .offset:         24
        .size:           4
        .value_kind:     by_value
    .group_segment_fixed_size: 4096
    .kernarg_segment_align: 8
    .kernarg_segment_size: 28
    .language:       OpenCL C
    .language_version:
      - 2
      - 0
    .max_flat_workgroup_size: 256
    .name:           _Z6kernelI27subtract_right_partial_tileLj256ELj16ELb0EJPxPiS1_jEEvDpT3_
    .private_segment_fixed_size: 0
    .sgpr_count:     14
    .sgpr_spill_count: 0
    .symbol:         _Z6kernelI27subtract_right_partial_tileLj256ELj16ELb0EJPxPiS1_jEEvDpT3_.kd
    .uniform_work_group_size: 1
    .uses_dynamic_stack: false
    .vgpr_count:     82
    .vgpr_spill_count: 0
    .wavefront_size: 32
    .workgroup_processor_mode: 1
  - .args:
      - .address_space:  global
        .offset:         0
        .size:           8
        .value_kind:     global_buffer
      - .address_space:  global
        .offset:         8
        .size:           8
        .value_kind:     global_buffer
      - .address_space:  global
        .offset:         16
        .size:           8
        .value_kind:     global_buffer
      - .offset:         24
        .size:           4
        .value_kind:     by_value
    .group_segment_fixed_size: 4096
    .kernarg_segment_align: 8
    .kernarg_segment_size: 28
    .language:       OpenCL C
    .language_version:
      - 2
      - 0
    .max_flat_workgroup_size: 256
    .name:           _Z6kernelI27subtract_right_partial_tileLj256ELj32ELb0EJPxPiS1_jEEvDpT3_
    .private_segment_fixed_size: 0
    .sgpr_count:     15
    .sgpr_spill_count: 0
    .symbol:         _Z6kernelI27subtract_right_partial_tileLj256ELj32ELb0EJPxPiS1_jEEvDpT3_.kd
    .uniform_work_group_size: 1
    .uses_dynamic_stack: false
    .vgpr_count:     119
    .vgpr_spill_count: 0
    .wavefront_size: 32
    .workgroup_processor_mode: 1
  - .args:
      - .address_space:  global
        .offset:         0
        .size:           8
        .value_kind:     global_buffer
      - .address_space:  global
        .offset:         8
        .size:           8
        .value_kind:     global_buffer
      - .address_space:  global
        .offset:         16
        .size:           8
        .value_kind:     global_buffer
      - .offset:         24
        .size:           4
        .value_kind:     by_value
    .group_segment_fixed_size: 4096
    .kernarg_segment_align: 8
    .kernarg_segment_size: 28
    .language:       OpenCL C
    .language_version:
      - 2
      - 0
    .max_flat_workgroup_size: 256
    .name:           _Z6kernelI27subtract_right_partial_tileLj256ELj1ELb0EJPdPiS1_jEEvDpT3_
    .private_segment_fixed_size: 0
    .sgpr_count:     12
    .sgpr_spill_count: 0
    .symbol:         _Z6kernelI27subtract_right_partial_tileLj256ELj1ELb0EJPdPiS1_jEEvDpT3_.kd
    .uniform_work_group_size: 1
    .uses_dynamic_stack: false
    .vgpr_count:     7
    .vgpr_spill_count: 0
    .wavefront_size: 32
    .workgroup_processor_mode: 1
  - .args:
      - .address_space:  global
        .offset:         0
        .size:           8
        .value_kind:     global_buffer
      - .address_space:  global
        .offset:         8
        .size:           8
        .value_kind:     global_buffer
      - .address_space:  global
        .offset:         16
        .size:           8
        .value_kind:     global_buffer
      - .offset:         24
        .size:           4
        .value_kind:     by_value
    .group_segment_fixed_size: 4096
    .kernarg_segment_align: 8
    .kernarg_segment_size: 28
    .language:       OpenCL C
    .language_version:
      - 2
      - 0
    .max_flat_workgroup_size: 256
    .name:           _Z6kernelI27subtract_right_partial_tileLj256ELj3ELb0EJPdPiS1_jEEvDpT3_
    .private_segment_fixed_size: 0
    .sgpr_count:     14
    .sgpr_spill_count: 0
    .symbol:         _Z6kernelI27subtract_right_partial_tileLj256ELj3ELb0EJPdPiS1_jEEvDpT3_.kd
    .uniform_work_group_size: 1
    .uses_dynamic_stack: false
    .vgpr_count:     17
    .vgpr_spill_count: 0
    .wavefront_size: 32
    .workgroup_processor_mode: 1
  - .args:
      - .address_space:  global
        .offset:         0
        .size:           8
        .value_kind:     global_buffer
      - .address_space:  global
        .offset:         8
        .size:           8
        .value_kind:     global_buffer
      - .address_space:  global
        .offset:         16
        .size:           8
        .value_kind:     global_buffer
      - .offset:         24
        .size:           4
        .value_kind:     by_value
    .group_segment_fixed_size: 4096
    .kernarg_segment_align: 8
    .kernarg_segment_size: 28
    .language:       OpenCL C
    .language_version:
      - 2
      - 0
    .max_flat_workgroup_size: 256
    .name:           _Z6kernelI27subtract_right_partial_tileLj256ELj4ELb0EJPdPiS1_jEEvDpT3_
    .private_segment_fixed_size: 0
    .sgpr_count:     14
    .sgpr_spill_count: 0
    .symbol:         _Z6kernelI27subtract_right_partial_tileLj256ELj4ELb0EJPdPiS1_jEEvDpT3_.kd
    .uniform_work_group_size: 1
    .uses_dynamic_stack: false
    .vgpr_count:     22
    .vgpr_spill_count: 0
    .wavefront_size: 32
    .workgroup_processor_mode: 1
  - .args:
      - .address_space:  global
        .offset:         0
        .size:           8
        .value_kind:     global_buffer
      - .address_space:  global
        .offset:         8
        .size:           8
        .value_kind:     global_buffer
      - .address_space:  global
        .offset:         16
        .size:           8
        .value_kind:     global_buffer
      - .offset:         24
        .size:           4
        .value_kind:     by_value
    .group_segment_fixed_size: 4096
    .kernarg_segment_align: 8
    .kernarg_segment_size: 28
    .language:       OpenCL C
    .language_version:
      - 2
      - 0
    .max_flat_workgroup_size: 256
    .name:           _Z6kernelI27subtract_right_partial_tileLj256ELj8ELb0EJPdPiS1_jEEvDpT3_
    .private_segment_fixed_size: 0
    .sgpr_count:     18
    .sgpr_spill_count: 0
    .symbol:         _Z6kernelI27subtract_right_partial_tileLj256ELj8ELb0EJPdPiS1_jEEvDpT3_.kd
    .uniform_work_group_size: 1
    .uses_dynamic_stack: false
    .vgpr_count:     42
    .vgpr_spill_count: 0
    .wavefront_size: 32
    .workgroup_processor_mode: 1
  - .args:
      - .address_space:  global
        .offset:         0
        .size:           8
        .value_kind:     global_buffer
      - .address_space:  global
        .offset:         8
        .size:           8
        .value_kind:     global_buffer
      - .address_space:  global
        .offset:         16
        .size:           8
        .value_kind:     global_buffer
      - .offset:         24
        .size:           4
        .value_kind:     by_value
    .group_segment_fixed_size: 4096
    .kernarg_segment_align: 8
    .kernarg_segment_size: 28
    .language:       OpenCL C
    .language_version:
      - 2
      - 0
    .max_flat_workgroup_size: 256
    .name:           _Z6kernelI27subtract_right_partial_tileLj256ELj16ELb0EJPdPiS1_jEEvDpT3_
    .private_segment_fixed_size: 0
    .sgpr_count:     17
    .sgpr_spill_count: 0
    .symbol:         _Z6kernelI27subtract_right_partial_tileLj256ELj16ELb0EJPdPiS1_jEEvDpT3_.kd
    .uniform_work_group_size: 1
    .uses_dynamic_stack: false
    .vgpr_count:     82
    .vgpr_spill_count: 0
    .wavefront_size: 32
    .workgroup_processor_mode: 1
  - .args:
      - .address_space:  global
        .offset:         0
        .size:           8
        .value_kind:     global_buffer
      - .address_space:  global
        .offset:         8
        .size:           8
        .value_kind:     global_buffer
      - .address_space:  global
        .offset:         16
        .size:           8
        .value_kind:     global_buffer
      - .offset:         24
        .size:           4
        .value_kind:     by_value
    .group_segment_fixed_size: 4096
    .kernarg_segment_align: 8
    .kernarg_segment_size: 28
    .language:       OpenCL C
    .language_version:
      - 2
      - 0
    .max_flat_workgroup_size: 256
    .name:           _Z6kernelI27subtract_right_partial_tileLj256ELj32ELb0EJPdPiS1_jEEvDpT3_
    .private_segment_fixed_size: 0
    .sgpr_count:     17
    .sgpr_spill_count: 0
    .symbol:         _Z6kernelI27subtract_right_partial_tileLj256ELj32ELb0EJPdPiS1_jEEvDpT3_.kd
    .uniform_work_group_size: 1
    .uses_dynamic_stack: false
    .vgpr_count:     162
    .vgpr_spill_count: 0
    .wavefront_size: 32
    .workgroup_processor_mode: 1
  - .args:
      - .address_space:  global
        .offset:         0
        .size:           8
        .value_kind:     global_buffer
      - .address_space:  global
        .offset:         8
        .size:           8
        .value_kind:     global_buffer
      - .address_space:  global
        .offset:         16
        .size:           8
        .value_kind:     global_buffer
      - .offset:         24
        .size:           4
        .value_kind:     by_value
    .group_segment_fixed_size: 2048
    .kernarg_segment_align: 8
    .kernarg_segment_size: 28
    .language:       OpenCL C
    .language_version:
      - 2
      - 0
    .max_flat_workgroup_size: 256
    .name:           _Z6kernelI27subtract_right_partial_tileLj256ELj1ELb1EJPiS1_S1_jEEvDpT3_
    .private_segment_fixed_size: 0
    .sgpr_count:     12
    .sgpr_spill_count: 0
    .symbol:         _Z6kernelI27subtract_right_partial_tileLj256ELj1ELb1EJPiS1_S1_jEEvDpT3_.kd
    .uniform_work_group_size: 1
    .uses_dynamic_stack: false
    .vgpr_count:     5
    .vgpr_spill_count: 0
    .wavefront_size: 32
    .workgroup_processor_mode: 1
  - .args:
      - .address_space:  global
        .offset:         0
        .size:           8
        .value_kind:     global_buffer
      - .address_space:  global
        .offset:         8
        .size:           8
        .value_kind:     global_buffer
      - .address_space:  global
        .offset:         16
        .size:           8
        .value_kind:     global_buffer
      - .offset:         24
        .size:           4
        .value_kind:     by_value
    .group_segment_fixed_size: 2048
    .kernarg_segment_align: 8
    .kernarg_segment_size: 28
    .language:       OpenCL C
    .language_version:
      - 2
      - 0
    .max_flat_workgroup_size: 256
    .name:           _Z6kernelI27subtract_right_partial_tileLj256ELj3ELb1EJPiS1_S1_jEEvDpT3_
    .private_segment_fixed_size: 0
    .sgpr_count:     14
    .sgpr_spill_count: 0
    .symbol:         _Z6kernelI27subtract_right_partial_tileLj256ELj3ELb1EJPiS1_S1_jEEvDpT3_.kd
    .uniform_work_group_size: 1
    .uses_dynamic_stack: false
    .vgpr_count:     11
    .vgpr_spill_count: 0
    .wavefront_size: 32
    .workgroup_processor_mode: 1
  - .args:
      - .address_space:  global
        .offset:         0
        .size:           8
        .value_kind:     global_buffer
      - .address_space:  global
        .offset:         8
        .size:           8
        .value_kind:     global_buffer
      - .address_space:  global
        .offset:         16
        .size:           8
        .value_kind:     global_buffer
      - .offset:         24
        .size:           4
        .value_kind:     by_value
    .group_segment_fixed_size: 2048
    .kernarg_segment_align: 8
    .kernarg_segment_size: 28
    .language:       OpenCL C
    .language_version:
      - 2
      - 0
    .max_flat_workgroup_size: 256
    .name:           _Z6kernelI27subtract_right_partial_tileLj256ELj4ELb1EJPiS1_S1_jEEvDpT3_
    .private_segment_fixed_size: 0
    .sgpr_count:     14
    .sgpr_spill_count: 0
    .symbol:         _Z6kernelI27subtract_right_partial_tileLj256ELj4ELb1EJPiS1_S1_jEEvDpT3_.kd
    .uniform_work_group_size: 1
    .uses_dynamic_stack: false
    .vgpr_count:     14
    .vgpr_spill_count: 0
    .wavefront_size: 32
    .workgroup_processor_mode: 1
  - .args:
      - .address_space:  global
        .offset:         0
        .size:           8
        .value_kind:     global_buffer
      - .address_space:  global
        .offset:         8
        .size:           8
        .value_kind:     global_buffer
      - .address_space:  global
        .offset:         16
        .size:           8
        .value_kind:     global_buffer
      - .offset:         24
        .size:           4
        .value_kind:     by_value
    .group_segment_fixed_size: 2048
    .kernarg_segment_align: 8
    .kernarg_segment_size: 28
    .language:       OpenCL C
    .language_version:
      - 2
      - 0
    .max_flat_workgroup_size: 256
    .name:           _Z6kernelI27subtract_right_partial_tileLj256ELj8ELb1EJPiS1_S1_jEEvDpT3_
    .private_segment_fixed_size: 0
    .sgpr_count:     14
    .sgpr_spill_count: 0
    .symbol:         _Z6kernelI27subtract_right_partial_tileLj256ELj8ELb1EJPiS1_S1_jEEvDpT3_.kd
    .uniform_work_group_size: 1
    .uses_dynamic_stack: false
    .vgpr_count:     26
    .vgpr_spill_count: 0
    .wavefront_size: 32
    .workgroup_processor_mode: 1
  - .args:
      - .address_space:  global
        .offset:         0
        .size:           8
        .value_kind:     global_buffer
      - .address_space:  global
        .offset:         8
        .size:           8
        .value_kind:     global_buffer
      - .address_space:  global
        .offset:         16
        .size:           8
        .value_kind:     global_buffer
      - .offset:         24
        .size:           4
        .value_kind:     by_value
    .group_segment_fixed_size: 2048
    .kernarg_segment_align: 8
    .kernarg_segment_size: 28
    .language:       OpenCL C
    .language_version:
      - 2
      - 0
    .max_flat_workgroup_size: 256
    .name:           _Z6kernelI27subtract_right_partial_tileLj256ELj16ELb1EJPiS1_S1_jEEvDpT3_
    .private_segment_fixed_size: 0
    .sgpr_count:     14
    .sgpr_spill_count: 0
    .symbol:         _Z6kernelI27subtract_right_partial_tileLj256ELj16ELb1EJPiS1_S1_jEEvDpT3_.kd
    .uniform_work_group_size: 1
    .uses_dynamic_stack: false
    .vgpr_count:     50
    .vgpr_spill_count: 0
    .wavefront_size: 32
    .workgroup_processor_mode: 1
  - .args:
      - .address_space:  global
        .offset:         0
        .size:           8
        .value_kind:     global_buffer
      - .address_space:  global
        .offset:         8
        .size:           8
        .value_kind:     global_buffer
      - .address_space:  global
        .offset:         16
        .size:           8
        .value_kind:     global_buffer
      - .offset:         24
        .size:           4
        .value_kind:     by_value
    .group_segment_fixed_size: 2048
    .kernarg_segment_align: 8
    .kernarg_segment_size: 28
    .language:       OpenCL C
    .language_version:
      - 2
      - 0
    .max_flat_workgroup_size: 256
    .name:           _Z6kernelI27subtract_right_partial_tileLj256ELj32ELb1EJPiS1_S1_jEEvDpT3_
    .private_segment_fixed_size: 0
    .sgpr_count:     14
    .sgpr_spill_count: 0
    .symbol:         _Z6kernelI27subtract_right_partial_tileLj256ELj32ELb1EJPiS1_S1_jEEvDpT3_.kd
    .uniform_work_group_size: 1
    .uses_dynamic_stack: false
    .vgpr_count:     95
    .vgpr_spill_count: 0
    .wavefront_size: 32
    .workgroup_processor_mode: 1
  - .args:
      - .address_space:  global
        .offset:         0
        .size:           8
        .value_kind:     global_buffer
      - .address_space:  global
        .offset:         8
        .size:           8
        .value_kind:     global_buffer
      - .address_space:  global
        .offset:         16
        .size:           8
        .value_kind:     global_buffer
      - .offset:         24
        .size:           4
        .value_kind:     by_value
    .group_segment_fixed_size: 2048
    .kernarg_segment_align: 8
    .kernarg_segment_size: 28
    .language:       OpenCL C
    .language_version:
      - 2
      - 0
    .max_flat_workgroup_size: 256
    .name:           _Z6kernelI27subtract_right_partial_tileLj256ELj1ELb1EJPfPiS1_jEEvDpT3_
    .private_segment_fixed_size: 0
    .sgpr_count:     12
    .sgpr_spill_count: 0
    .symbol:         _Z6kernelI27subtract_right_partial_tileLj256ELj1ELb1EJPfPiS1_jEEvDpT3_.kd
    .uniform_work_group_size: 1
    .uses_dynamic_stack: false
    .vgpr_count:     5
    .vgpr_spill_count: 0
    .wavefront_size: 32
    .workgroup_processor_mode: 1
  - .args:
      - .address_space:  global
        .offset:         0
        .size:           8
        .value_kind:     global_buffer
      - .address_space:  global
        .offset:         8
        .size:           8
        .value_kind:     global_buffer
      - .address_space:  global
        .offset:         16
        .size:           8
        .value_kind:     global_buffer
      - .offset:         24
        .size:           4
        .value_kind:     by_value
    .group_segment_fixed_size: 2048
    .kernarg_segment_align: 8
    .kernarg_segment_size: 28
    .language:       OpenCL C
    .language_version:
      - 2
      - 0
    .max_flat_workgroup_size: 256
    .name:           _Z6kernelI27subtract_right_partial_tileLj256ELj3ELb1EJPfPiS1_jEEvDpT3_
    .private_segment_fixed_size: 0
    .sgpr_count:     14
    .sgpr_spill_count: 0
    .symbol:         _Z6kernelI27subtract_right_partial_tileLj256ELj3ELb1EJPfPiS1_jEEvDpT3_.kd
    .uniform_work_group_size: 1
    .uses_dynamic_stack: false
    .vgpr_count:     11
    .vgpr_spill_count: 0
    .wavefront_size: 32
    .workgroup_processor_mode: 1
  - .args:
      - .address_space:  global
        .offset:         0
        .size:           8
        .value_kind:     global_buffer
      - .address_space:  global
        .offset:         8
        .size:           8
        .value_kind:     global_buffer
      - .address_space:  global
        .offset:         16
        .size:           8
        .value_kind:     global_buffer
      - .offset:         24
        .size:           4
        .value_kind:     by_value
    .group_segment_fixed_size: 2048
    .kernarg_segment_align: 8
    .kernarg_segment_size: 28
    .language:       OpenCL C
    .language_version:
      - 2
      - 0
    .max_flat_workgroup_size: 256
    .name:           _Z6kernelI27subtract_right_partial_tileLj256ELj4ELb1EJPfPiS1_jEEvDpT3_
    .private_segment_fixed_size: 0
    .sgpr_count:     14
    .sgpr_spill_count: 0
    .symbol:         _Z6kernelI27subtract_right_partial_tileLj256ELj4ELb1EJPfPiS1_jEEvDpT3_.kd
    .uniform_work_group_size: 1
    .uses_dynamic_stack: false
    .vgpr_count:     14
    .vgpr_spill_count: 0
    .wavefront_size: 32
    .workgroup_processor_mode: 1
  - .args:
      - .address_space:  global
        .offset:         0
        .size:           8
        .value_kind:     global_buffer
      - .address_space:  global
        .offset:         8
        .size:           8
        .value_kind:     global_buffer
      - .address_space:  global
        .offset:         16
        .size:           8
        .value_kind:     global_buffer
      - .offset:         24
        .size:           4
        .value_kind:     by_value
    .group_segment_fixed_size: 2048
    .kernarg_segment_align: 8
    .kernarg_segment_size: 28
    .language:       OpenCL C
    .language_version:
      - 2
      - 0
    .max_flat_workgroup_size: 256
    .name:           _Z6kernelI27subtract_right_partial_tileLj256ELj8ELb1EJPfPiS1_jEEvDpT3_
    .private_segment_fixed_size: 0
    .sgpr_count:     14
    .sgpr_spill_count: 0
    .symbol:         _Z6kernelI27subtract_right_partial_tileLj256ELj8ELb1EJPfPiS1_jEEvDpT3_.kd
    .uniform_work_group_size: 1
    .uses_dynamic_stack: false
    .vgpr_count:     26
    .vgpr_spill_count: 0
    .wavefront_size: 32
    .workgroup_processor_mode: 1
  - .args:
      - .address_space:  global
        .offset:         0
        .size:           8
        .value_kind:     global_buffer
      - .address_space:  global
        .offset:         8
        .size:           8
        .value_kind:     global_buffer
      - .address_space:  global
        .offset:         16
        .size:           8
        .value_kind:     global_buffer
      - .offset:         24
        .size:           4
        .value_kind:     by_value
    .group_segment_fixed_size: 2048
    .kernarg_segment_align: 8
    .kernarg_segment_size: 28
    .language:       OpenCL C
    .language_version:
      - 2
      - 0
    .max_flat_workgroup_size: 256
    .name:           _Z6kernelI27subtract_right_partial_tileLj256ELj16ELb1EJPfPiS1_jEEvDpT3_
    .private_segment_fixed_size: 0
    .sgpr_count:     14
    .sgpr_spill_count: 0
    .symbol:         _Z6kernelI27subtract_right_partial_tileLj256ELj16ELb1EJPfPiS1_jEEvDpT3_.kd
    .uniform_work_group_size: 1
    .uses_dynamic_stack: false
    .vgpr_count:     50
    .vgpr_spill_count: 0
    .wavefront_size: 32
    .workgroup_processor_mode: 1
  - .args:
      - .address_space:  global
        .offset:         0
        .size:           8
        .value_kind:     global_buffer
      - .address_space:  global
        .offset:         8
        .size:           8
        .value_kind:     global_buffer
      - .address_space:  global
        .offset:         16
        .size:           8
        .value_kind:     global_buffer
      - .offset:         24
        .size:           4
        .value_kind:     by_value
    .group_segment_fixed_size: 2048
    .kernarg_segment_align: 8
    .kernarg_segment_size: 28
    .language:       OpenCL C
    .language_version:
      - 2
      - 0
    .max_flat_workgroup_size: 256
    .name:           _Z6kernelI27subtract_right_partial_tileLj256ELj32ELb1EJPfPiS1_jEEvDpT3_
    .private_segment_fixed_size: 0
    .sgpr_count:     14
    .sgpr_spill_count: 0
    .symbol:         _Z6kernelI27subtract_right_partial_tileLj256ELj32ELb1EJPfPiS1_jEEvDpT3_.kd
    .uniform_work_group_size: 1
    .uses_dynamic_stack: false
    .vgpr_count:     95
    .vgpr_spill_count: 0
    .wavefront_size: 32
    .workgroup_processor_mode: 1
  - .args:
      - .address_space:  global
        .offset:         0
        .size:           8
        .value_kind:     global_buffer
      - .address_space:  global
        .offset:         8
        .size:           8
        .value_kind:     global_buffer
      - .address_space:  global
        .offset:         16
        .size:           8
        .value_kind:     global_buffer
      - .offset:         24
        .size:           4
        .value_kind:     by_value
    .group_segment_fixed_size: 512
    .kernarg_segment_align: 8
    .kernarg_segment_size: 28
    .language:       OpenCL C
    .language_version:
      - 2
      - 0
    .max_flat_workgroup_size: 256
    .name:           _Z6kernelI27subtract_right_partial_tileLj256ELj1ELb1EJPaPiS1_jEEvDpT3_
    .private_segment_fixed_size: 0
    .sgpr_count:     12
    .sgpr_spill_count: 0
    .symbol:         _Z6kernelI27subtract_right_partial_tileLj256ELj1ELb1EJPaPiS1_jEEvDpT3_.kd
    .uniform_work_group_size: 1
    .uses_dynamic_stack: false
    .vgpr_count:     4
    .vgpr_spill_count: 0
    .wavefront_size: 32
    .workgroup_processor_mode: 1
  - .args:
      - .address_space:  global
        .offset:         0
        .size:           8
        .value_kind:     global_buffer
      - .address_space:  global
        .offset:         8
        .size:           8
        .value_kind:     global_buffer
      - .address_space:  global
        .offset:         16
        .size:           8
        .value_kind:     global_buffer
      - .offset:         24
        .size:           4
        .value_kind:     by_value
    .group_segment_fixed_size: 512
    .kernarg_segment_align: 8
    .kernarg_segment_size: 28
    .language:       OpenCL C
    .language_version:
      - 2
      - 0
    .max_flat_workgroup_size: 256
    .name:           _Z6kernelI27subtract_right_partial_tileLj256ELj3ELb1EJPaPiS1_jEEvDpT3_
    .private_segment_fixed_size: 0
    .sgpr_count:     14
    .sgpr_spill_count: 0
    .symbol:         _Z6kernelI27subtract_right_partial_tileLj256ELj3ELb1EJPaPiS1_jEEvDpT3_.kd
    .uniform_work_group_size: 1
    .uses_dynamic_stack: false
    .vgpr_count:     11
    .vgpr_spill_count: 0
    .wavefront_size: 32
    .workgroup_processor_mode: 1
  - .args:
      - .address_space:  global
        .offset:         0
        .size:           8
        .value_kind:     global_buffer
      - .address_space:  global
        .offset:         8
        .size:           8
        .value_kind:     global_buffer
      - .address_space:  global
        .offset:         16
        .size:           8
        .value_kind:     global_buffer
      - .offset:         24
        .size:           4
        .value_kind:     by_value
    .group_segment_fixed_size: 512
    .kernarg_segment_align: 8
    .kernarg_segment_size: 28
    .language:       OpenCL C
    .language_version:
      - 2
      - 0
    .max_flat_workgroup_size: 256
    .name:           _Z6kernelI27subtract_right_partial_tileLj256ELj4ELb1EJPaPiS1_jEEvDpT3_
    .private_segment_fixed_size: 0
    .sgpr_count:     14
    .sgpr_spill_count: 0
    .symbol:         _Z6kernelI27subtract_right_partial_tileLj256ELj4ELb1EJPaPiS1_jEEvDpT3_.kd
    .uniform_work_group_size: 1
    .uses_dynamic_stack: false
    .vgpr_count:     13
    .vgpr_spill_count: 0
    .wavefront_size: 32
    .workgroup_processor_mode: 1
  - .args:
      - .address_space:  global
        .offset:         0
        .size:           8
        .value_kind:     global_buffer
      - .address_space:  global
        .offset:         8
        .size:           8
        .value_kind:     global_buffer
      - .address_space:  global
        .offset:         16
        .size:           8
        .value_kind:     global_buffer
      - .offset:         24
        .size:           4
        .value_kind:     by_value
    .group_segment_fixed_size: 512
    .kernarg_segment_align: 8
    .kernarg_segment_size: 28
    .language:       OpenCL C
    .language_version:
      - 2
      - 0
    .max_flat_workgroup_size: 256
    .name:           _Z6kernelI27subtract_right_partial_tileLj256ELj8ELb1EJPaPiS1_jEEvDpT3_
    .private_segment_fixed_size: 0
    .sgpr_count:     14
    .sgpr_spill_count: 0
    .symbol:         _Z6kernelI27subtract_right_partial_tileLj256ELj8ELb1EJPaPiS1_jEEvDpT3_.kd
    .uniform_work_group_size: 1
    .uses_dynamic_stack: false
    .vgpr_count:     24
    .vgpr_spill_count: 0
    .wavefront_size: 32
    .workgroup_processor_mode: 1
  - .args:
      - .address_space:  global
        .offset:         0
        .size:           8
        .value_kind:     global_buffer
      - .address_space:  global
        .offset:         8
        .size:           8
        .value_kind:     global_buffer
      - .address_space:  global
        .offset:         16
        .size:           8
        .value_kind:     global_buffer
      - .offset:         24
        .size:           4
        .value_kind:     by_value
    .group_segment_fixed_size: 512
    .kernarg_segment_align: 8
    .kernarg_segment_size: 28
    .language:       OpenCL C
    .language_version:
      - 2
      - 0
    .max_flat_workgroup_size: 256
    .name:           _Z6kernelI27subtract_right_partial_tileLj256ELj16ELb1EJPaPiS1_jEEvDpT3_
    .private_segment_fixed_size: 0
    .sgpr_count:     14
    .sgpr_spill_count: 0
    .symbol:         _Z6kernelI27subtract_right_partial_tileLj256ELj16ELb1EJPaPiS1_jEEvDpT3_.kd
    .uniform_work_group_size: 1
    .uses_dynamic_stack: false
    .vgpr_count:     46
    .vgpr_spill_count: 0
    .wavefront_size: 32
    .workgroup_processor_mode: 1
  - .args:
      - .address_space:  global
        .offset:         0
        .size:           8
        .value_kind:     global_buffer
      - .address_space:  global
        .offset:         8
        .size:           8
        .value_kind:     global_buffer
      - .address_space:  global
        .offset:         16
        .size:           8
        .value_kind:     global_buffer
      - .offset:         24
        .size:           4
        .value_kind:     by_value
    .group_segment_fixed_size: 512
    .kernarg_segment_align: 8
    .kernarg_segment_size: 28
    .language:       OpenCL C
    .language_version:
      - 2
      - 0
    .max_flat_workgroup_size: 256
    .name:           _Z6kernelI27subtract_right_partial_tileLj256ELj32ELb1EJPaPiS1_jEEvDpT3_
    .private_segment_fixed_size: 0
    .sgpr_count:     14
    .sgpr_spill_count: 0
    .symbol:         _Z6kernelI27subtract_right_partial_tileLj256ELj32ELb1EJPaPiS1_jEEvDpT3_.kd
    .uniform_work_group_size: 1
    .uses_dynamic_stack: false
    .vgpr_count:     95
    .vgpr_spill_count: 0
    .wavefront_size: 32
    .workgroup_processor_mode: 1
  - .args:
      - .address_space:  global
        .offset:         0
        .size:           8
        .value_kind:     global_buffer
      - .address_space:  global
        .offset:         8
        .size:           8
        .value_kind:     global_buffer
      - .address_space:  global
        .offset:         16
        .size:           8
        .value_kind:     global_buffer
      - .offset:         24
        .size:           4
        .value_kind:     by_value
    .group_segment_fixed_size: 4096
    .kernarg_segment_align: 8
    .kernarg_segment_size: 28
    .language:       OpenCL C
    .language_version:
      - 2
      - 0
    .max_flat_workgroup_size: 256
    .name:           _Z6kernelI27subtract_right_partial_tileLj256ELj1ELb1EJPxPiS1_jEEvDpT3_
    .private_segment_fixed_size: 0
    .sgpr_count:     14
    .sgpr_spill_count: 0
    .symbol:         _Z6kernelI27subtract_right_partial_tileLj256ELj1ELb1EJPxPiS1_jEEvDpT3_.kd
    .uniform_work_group_size: 1
    .uses_dynamic_stack: false
    .vgpr_count:     7
    .vgpr_spill_count: 0
    .wavefront_size: 32
    .workgroup_processor_mode: 1
  - .args:
      - .address_space:  global
        .offset:         0
        .size:           8
        .value_kind:     global_buffer
      - .address_space:  global
        .offset:         8
        .size:           8
        .value_kind:     global_buffer
      - .address_space:  global
        .offset:         16
        .size:           8
        .value_kind:     global_buffer
      - .offset:         24
        .size:           4
        .value_kind:     by_value
    .group_segment_fixed_size: 4096
    .kernarg_segment_align: 8
    .kernarg_segment_size: 28
    .language:       OpenCL C
    .language_version:
      - 2
      - 0
    .max_flat_workgroup_size: 256
    .name:           _Z6kernelI27subtract_right_partial_tileLj256ELj3ELb1EJPxPiS1_jEEvDpT3_
    .private_segment_fixed_size: 0
    .sgpr_count:     14
    .sgpr_spill_count: 0
    .symbol:         _Z6kernelI27subtract_right_partial_tileLj256ELj3ELb1EJPxPiS1_jEEvDpT3_.kd
    .uniform_work_group_size: 1
    .uses_dynamic_stack: false
    .vgpr_count:     17
    .vgpr_spill_count: 0
    .wavefront_size: 32
    .workgroup_processor_mode: 1
  - .args:
      - .address_space:  global
        .offset:         0
        .size:           8
        .value_kind:     global_buffer
      - .address_space:  global
        .offset:         8
        .size:           8
        .value_kind:     global_buffer
      - .address_space:  global
        .offset:         16
        .size:           8
        .value_kind:     global_buffer
      - .offset:         24
        .size:           4
        .value_kind:     by_value
    .group_segment_fixed_size: 4096
    .kernarg_segment_align: 8
    .kernarg_segment_size: 28
    .language:       OpenCL C
    .language_version:
      - 2
      - 0
    .max_flat_workgroup_size: 256
    .name:           _Z6kernelI27subtract_right_partial_tileLj256ELj4ELb1EJPxPiS1_jEEvDpT3_
    .private_segment_fixed_size: 0
    .sgpr_count:     14
    .sgpr_spill_count: 0
    .symbol:         _Z6kernelI27subtract_right_partial_tileLj256ELj4ELb1EJPxPiS1_jEEvDpT3_.kd
    .uniform_work_group_size: 1
    .uses_dynamic_stack: false
    .vgpr_count:     22
    .vgpr_spill_count: 0
    .wavefront_size: 32
    .workgroup_processor_mode: 1
  - .args:
      - .address_space:  global
        .offset:         0
        .size:           8
        .value_kind:     global_buffer
      - .address_space:  global
        .offset:         8
        .size:           8
        .value_kind:     global_buffer
      - .address_space:  global
        .offset:         16
        .size:           8
        .value_kind:     global_buffer
      - .offset:         24
        .size:           4
        .value_kind:     by_value
    .group_segment_fixed_size: 4096
    .kernarg_segment_align: 8
    .kernarg_segment_size: 28
    .language:       OpenCL C
    .language_version:
      - 2
      - 0
    .max_flat_workgroup_size: 256
    .name:           _Z6kernelI27subtract_right_partial_tileLj256ELj8ELb1EJPxPiS1_jEEvDpT3_
    .private_segment_fixed_size: 0
    .sgpr_count:     14
    .sgpr_spill_count: 0
    .symbol:         _Z6kernelI27subtract_right_partial_tileLj256ELj8ELb1EJPxPiS1_jEEvDpT3_.kd
    .uniform_work_group_size: 1
    .uses_dynamic_stack: false
    .vgpr_count:     42
    .vgpr_spill_count: 0
    .wavefront_size: 32
    .workgroup_processor_mode: 1
  - .args:
      - .address_space:  global
        .offset:         0
        .size:           8
        .value_kind:     global_buffer
      - .address_space:  global
        .offset:         8
        .size:           8
        .value_kind:     global_buffer
      - .address_space:  global
        .offset:         16
        .size:           8
        .value_kind:     global_buffer
      - .offset:         24
        .size:           4
        .value_kind:     by_value
    .group_segment_fixed_size: 4096
    .kernarg_segment_align: 8
    .kernarg_segment_size: 28
    .language:       OpenCL C
    .language_version:
      - 2
      - 0
    .max_flat_workgroup_size: 256
    .name:           _Z6kernelI27subtract_right_partial_tileLj256ELj16ELb1EJPxPiS1_jEEvDpT3_
    .private_segment_fixed_size: 0
    .sgpr_count:     14
    .sgpr_spill_count: 0
    .symbol:         _Z6kernelI27subtract_right_partial_tileLj256ELj16ELb1EJPxPiS1_jEEvDpT3_.kd
    .uniform_work_group_size: 1
    .uses_dynamic_stack: false
    .vgpr_count:     82
    .vgpr_spill_count: 0
    .wavefront_size: 32
    .workgroup_processor_mode: 1
  - .args:
      - .address_space:  global
        .offset:         0
        .size:           8
        .value_kind:     global_buffer
      - .address_space:  global
        .offset:         8
        .size:           8
        .value_kind:     global_buffer
      - .address_space:  global
        .offset:         16
        .size:           8
        .value_kind:     global_buffer
      - .offset:         24
        .size:           4
        .value_kind:     by_value
    .group_segment_fixed_size: 4096
    .kernarg_segment_align: 8
    .kernarg_segment_size: 28
    .language:       OpenCL C
    .language_version:
      - 2
      - 0
    .max_flat_workgroup_size: 256
    .name:           _Z6kernelI27subtract_right_partial_tileLj256ELj32ELb1EJPxPiS1_jEEvDpT3_
    .private_segment_fixed_size: 0
    .sgpr_count:     15
    .sgpr_spill_count: 0
    .symbol:         _Z6kernelI27subtract_right_partial_tileLj256ELj32ELb1EJPxPiS1_jEEvDpT3_.kd
    .uniform_work_group_size: 1
    .uses_dynamic_stack: false
    .vgpr_count:     119
    .vgpr_spill_count: 0
    .wavefront_size: 32
    .workgroup_processor_mode: 1
  - .args:
      - .address_space:  global
        .offset:         0
        .size:           8
        .value_kind:     global_buffer
      - .address_space:  global
        .offset:         8
        .size:           8
        .value_kind:     global_buffer
      - .address_space:  global
        .offset:         16
        .size:           8
        .value_kind:     global_buffer
      - .offset:         24
        .size:           4
        .value_kind:     by_value
    .group_segment_fixed_size: 4096
    .kernarg_segment_align: 8
    .kernarg_segment_size: 28
    .language:       OpenCL C
    .language_version:
      - 2
      - 0
    .max_flat_workgroup_size: 256
    .name:           _Z6kernelI27subtract_right_partial_tileLj256ELj1ELb1EJPdPiS1_jEEvDpT3_
    .private_segment_fixed_size: 0
    .sgpr_count:     12
    .sgpr_spill_count: 0
    .symbol:         _Z6kernelI27subtract_right_partial_tileLj256ELj1ELb1EJPdPiS1_jEEvDpT3_.kd
    .uniform_work_group_size: 1
    .uses_dynamic_stack: false
    .vgpr_count:     7
    .vgpr_spill_count: 0
    .wavefront_size: 32
    .workgroup_processor_mode: 1
  - .args:
      - .address_space:  global
        .offset:         0
        .size:           8
        .value_kind:     global_buffer
      - .address_space:  global
        .offset:         8
        .size:           8
        .value_kind:     global_buffer
      - .address_space:  global
        .offset:         16
        .size:           8
        .value_kind:     global_buffer
      - .offset:         24
        .size:           4
        .value_kind:     by_value
    .group_segment_fixed_size: 4096
    .kernarg_segment_align: 8
    .kernarg_segment_size: 28
    .language:       OpenCL C
    .language_version:
      - 2
      - 0
    .max_flat_workgroup_size: 256
    .name:           _Z6kernelI27subtract_right_partial_tileLj256ELj3ELb1EJPdPiS1_jEEvDpT3_
    .private_segment_fixed_size: 0
    .sgpr_count:     14
    .sgpr_spill_count: 0
    .symbol:         _Z6kernelI27subtract_right_partial_tileLj256ELj3ELb1EJPdPiS1_jEEvDpT3_.kd
    .uniform_work_group_size: 1
    .uses_dynamic_stack: false
    .vgpr_count:     17
    .vgpr_spill_count: 0
    .wavefront_size: 32
    .workgroup_processor_mode: 1
  - .args:
      - .address_space:  global
        .offset:         0
        .size:           8
        .value_kind:     global_buffer
      - .address_space:  global
        .offset:         8
        .size:           8
        .value_kind:     global_buffer
      - .address_space:  global
        .offset:         16
        .size:           8
        .value_kind:     global_buffer
      - .offset:         24
        .size:           4
        .value_kind:     by_value
    .group_segment_fixed_size: 4096
    .kernarg_segment_align: 8
    .kernarg_segment_size: 28
    .language:       OpenCL C
    .language_version:
      - 2
      - 0
    .max_flat_workgroup_size: 256
    .name:           _Z6kernelI27subtract_right_partial_tileLj256ELj4ELb1EJPdPiS1_jEEvDpT3_
    .private_segment_fixed_size: 0
    .sgpr_count:     14
    .sgpr_spill_count: 0
    .symbol:         _Z6kernelI27subtract_right_partial_tileLj256ELj4ELb1EJPdPiS1_jEEvDpT3_.kd
    .uniform_work_group_size: 1
    .uses_dynamic_stack: false
    .vgpr_count:     22
    .vgpr_spill_count: 0
    .wavefront_size: 32
    .workgroup_processor_mode: 1
  - .args:
      - .address_space:  global
        .offset:         0
        .size:           8
        .value_kind:     global_buffer
      - .address_space:  global
        .offset:         8
        .size:           8
        .value_kind:     global_buffer
      - .address_space:  global
        .offset:         16
        .size:           8
        .value_kind:     global_buffer
      - .offset:         24
        .size:           4
        .value_kind:     by_value
    .group_segment_fixed_size: 4096
    .kernarg_segment_align: 8
    .kernarg_segment_size: 28
    .language:       OpenCL C
    .language_version:
      - 2
      - 0
    .max_flat_workgroup_size: 256
    .name:           _Z6kernelI27subtract_right_partial_tileLj256ELj8ELb1EJPdPiS1_jEEvDpT3_
    .private_segment_fixed_size: 0
    .sgpr_count:     18
    .sgpr_spill_count: 0
    .symbol:         _Z6kernelI27subtract_right_partial_tileLj256ELj8ELb1EJPdPiS1_jEEvDpT3_.kd
    .uniform_work_group_size: 1
    .uses_dynamic_stack: false
    .vgpr_count:     42
    .vgpr_spill_count: 0
    .wavefront_size: 32
    .workgroup_processor_mode: 1
  - .args:
      - .address_space:  global
        .offset:         0
        .size:           8
        .value_kind:     global_buffer
      - .address_space:  global
        .offset:         8
        .size:           8
        .value_kind:     global_buffer
      - .address_space:  global
        .offset:         16
        .size:           8
        .value_kind:     global_buffer
      - .offset:         24
        .size:           4
        .value_kind:     by_value
    .group_segment_fixed_size: 4096
    .kernarg_segment_align: 8
    .kernarg_segment_size: 28
    .language:       OpenCL C
    .language_version:
      - 2
      - 0
    .max_flat_workgroup_size: 256
    .name:           _Z6kernelI27subtract_right_partial_tileLj256ELj16ELb1EJPdPiS1_jEEvDpT3_
    .private_segment_fixed_size: 0
    .sgpr_count:     17
    .sgpr_spill_count: 0
    .symbol:         _Z6kernelI27subtract_right_partial_tileLj256ELj16ELb1EJPdPiS1_jEEvDpT3_.kd
    .uniform_work_group_size: 1
    .uses_dynamic_stack: false
    .vgpr_count:     82
    .vgpr_spill_count: 0
    .wavefront_size: 32
    .workgroup_processor_mode: 1
  - .args:
      - .address_space:  global
        .offset:         0
        .size:           8
        .value_kind:     global_buffer
      - .address_space:  global
        .offset:         8
        .size:           8
        .value_kind:     global_buffer
      - .address_space:  global
        .offset:         16
        .size:           8
        .value_kind:     global_buffer
      - .offset:         24
        .size:           4
        .value_kind:     by_value
    .group_segment_fixed_size: 4096
    .kernarg_segment_align: 8
    .kernarg_segment_size: 28
    .language:       OpenCL C
    .language_version:
      - 2
      - 0
    .max_flat_workgroup_size: 256
    .name:           _Z6kernelI27subtract_right_partial_tileLj256ELj32ELb1EJPdPiS1_jEEvDpT3_
    .private_segment_fixed_size: 0
    .sgpr_count:     17
    .sgpr_spill_count: 0
    .symbol:         _Z6kernelI27subtract_right_partial_tileLj256ELj32ELb1EJPdPiS1_jEEvDpT3_.kd
    .uniform_work_group_size: 1
    .uses_dynamic_stack: false
    .vgpr_count:     162
    .vgpr_spill_count: 0
    .wavefront_size: 32
    .workgroup_processor_mode: 1
amdhsa.target:   amdgcn-amd-amdhsa--gfx1201
amdhsa.version:
  - 1
  - 2
...

	.end_amdgpu_metadata
